;; amdgpu-corpus repo=ROCm/rocFFT kind=compiled arch=gfx906 opt=O3
	.text
	.amdgcn_target "amdgcn-amd-amdhsa--gfx906"
	.amdhsa_code_object_version 6
	.protected	bluestein_single_back_len2916_dim1_dp_op_CI_CI ; -- Begin function bluestein_single_back_len2916_dim1_dp_op_CI_CI
	.globl	bluestein_single_back_len2916_dim1_dp_op_CI_CI
	.p2align	8
	.type	bluestein_single_back_len2916_dim1_dp_op_CI_CI,@function
bluestein_single_back_len2916_dim1_dp_op_CI_CI: ; @bluestein_single_back_len2916_dim1_dp_op_CI_CI
; %bb.0:
	s_load_dwordx4 s[16:19], s[4:5], 0x28
	s_mov_b64 s[22:23], s[2:3]
	v_mul_u32_u24_e32 v1, 0x10e, v0
	s_mov_b64 s[20:21], s[0:1]
	v_add_u32_sdwa v2, s6, v1 dst_sel:DWORD dst_unused:UNUSED_PAD src0_sel:DWORD src1_sel:WORD_1
	v_mov_b32_e32 v3, 0
	s_add_u32 s20, s20, s7
	s_waitcnt lgkmcnt(0)
	v_cmp_gt_u64_e32 vcc, s[16:17], v[2:3]
	s_addc_u32 s21, s21, 0
	s_and_saveexec_b64 s[0:1], vcc
	s_cbranch_execz .LBB0_2
; %bb.1:
	s_load_dwordx4 s[8:11], s[4:5], 0x18
	v_mov_b32_e32 v4, v2
	s_movk_i32 s6, 0xf3
	v_mul_lo_u16_sdwa v1, v1, s6 dst_sel:DWORD dst_unused:UNUSED_PAD src0_sel:WORD_1 src1_sel:DWORD
	v_sub_u16_e32 v32, v0, v1
	s_waitcnt lgkmcnt(0)
	s_load_dwordx4 s[12:15], s[8:9], 0x0
	buffer_store_dword v4, off, s[20:23], 0 offset:128 ; 4-byte Folded Spill
	s_nop 0
	buffer_store_dword v5, off, s[20:23], 0 offset:132 ; 4-byte Folded Spill
	v_lshlrev_b32_e32 v241, 4, v32
	s_movk_i32 s9, 0x5000
	v_mov_b32_e32 v8, 0xffff7750
	s_waitcnt lgkmcnt(0)
	v_mad_u64_u32 v[0:1], s[0:1], s14, v2, 0
	v_mad_u64_u32 v[2:3], s[0:1], s12, v32, 0
	s_mul_i32 s7, s13, 0x1e60
	s_mul_hi_u32 s8, s12, 0x1e60
	s_add_i32 s7, s8, s7
	s_mul_i32 s8, s12, 0x1e60
	s_movk_i32 s14, 0x3000
	v_mad_u64_u32 v[4:5], s[0:1], s15, v4, v[1:2]
	s_movk_i32 s15, 0x1000
	v_mad_u64_u32 v[5:6], s[0:1], s13, v32, v[3:4]
	v_mov_b32_e32 v1, v4
	v_lshlrev_b64 v[0:1], 4, v[0:1]
	s_load_dwordx4 s[0:3], s[4:5], 0x0
	v_mov_b32_e32 v6, s19
	v_mov_b32_e32 v3, v5
	v_add_co_u32_e32 v4, vcc, s18, v0
	v_addc_co_u32_e32 v5, vcc, v6, v1, vcc
	v_lshlrev_b64 v[0:1], 4, v[2:3]
	s_waitcnt lgkmcnt(0)
	v_mov_b32_e32 v2, s1
	v_add_co_u32_e32 v0, vcc, v4, v0
	v_addc_co_u32_e32 v1, vcc, v5, v1, vcc
	v_add_co_u32_e32 v244, vcc, s0, v241
	v_addc_co_u32_e32 v245, vcc, 0, v2, vcc
	global_load_dwordx4 v[48:51], v[0:1], off
	v_add_co_u32_e32 v0, vcc, s8, v0
	v_mov_b32_e32 v2, s7
	global_load_dwordx4 v[4:7], v241, s[0:1]
	v_addc_co_u32_e32 v1, vcc, v1, v2, vcc
	v_add_co_u32_e32 v2, vcc, s15, v244
	v_addc_co_u32_e32 v3, vcc, 0, v245, vcc
	global_load_dwordx4 v[12:15], v[2:3], off offset:3680
	global_load_dwordx4 v[52:55], v[0:1], off
	v_add_co_u32_e32 v0, vcc, s8, v0
	v_mov_b32_e32 v2, s7
	v_addc_co_u32_e32 v1, vcc, v1, v2, vcc
	v_add_co_u32_e32 v2, vcc, s14, v244
	v_addc_co_u32_e32 v3, vcc, 0, v245, vcc
	global_load_dwordx4 v[56:59], v[0:1], off
	global_load_dwordx4 v[24:27], v[2:3], off offset:3264
	v_add_co_u32_e32 v0, vcc, s8, v0
	v_mov_b32_e32 v2, s7
	v_addc_co_u32_e32 v1, vcc, v1, v2, vcc
	v_add_co_u32_e32 v2, vcc, s9, v244
	v_addc_co_u32_e32 v3, vcc, 0, v245, vcc
	global_load_dwordx4 v[60:63], v[0:1], off
	global_load_dwordx4 v[28:31], v[2:3], off offset:2848
	v_add_co_u32_e32 v0, vcc, s8, v0
	v_mov_b32_e32 v2, s7
	v_addc_co_u32_e32 v1, vcc, v1, v2, vcc
	s_movk_i32 s9, 0x7000
	v_add_co_u32_e32 v2, vcc, s9, v244
	v_addc_co_u32_e32 v3, vcc, 0, v245, vcc
	global_load_dwordx4 v[64:67], v[0:1], off
	global_load_dwordx4 v[96:99], v[2:3], off offset:2432
	v_add_co_u32_e32 v0, vcc, s8, v0
	v_mov_b32_e32 v2, s7
	v_addc_co_u32_e32 v1, vcc, v1, v2, vcc
	global_load_dwordx4 v[68:71], v[0:1], off
	v_mad_u64_u32 v[0:1], s[16:17], s12, v8, v[0:1]
	s_mov_b32 s9, 0x9000
	v_add_co_u32_e32 v2, vcc, s9, v244
	s_mul_i32 s9, s13, 0xffff7750
	s_sub_i32 s9, s9, s12
	v_addc_co_u32_e32 v3, vcc, 0, v245, vcc
	v_add_u32_e32 v1, s9, v1
	global_load_dwordx4 v[250:253], v[2:3], off offset:2016
	global_load_dwordx4 v[72:75], v[0:1], off
	global_load_dwordx4 v[100:103], v241, s[0:1] offset:3888
	v_add_co_u32_e32 v0, vcc, s8, v0
	v_mov_b32_e32 v2, s7
	v_addc_co_u32_e32 v1, vcc, v1, v2, vcc
	s_movk_i32 s0, 0x2000
	v_add_co_u32_e32 v2, vcc, s0, v244
	v_addc_co_u32_e32 v3, vcc, 0, v245, vcc
	global_load_dwordx4 v[76:79], v[0:1], off
	global_load_dwordx4 v[36:39], v[2:3], off offset:3472
	v_add_co_u32_e32 v0, vcc, s8, v0
	v_mov_b32_e32 v2, s7
	v_addc_co_u32_e32 v1, vcc, v1, v2, vcc
	s_movk_i32 s0, 0x4000
	v_add_co_u32_e32 v2, vcc, s0, v244
	v_addc_co_u32_e32 v3, vcc, 0, v245, vcc
	global_load_dwordx4 v[80:83], v[0:1], off
	global_load_dwordx4 v[40:43], v[2:3], off offset:3056
	v_add_co_u32_e32 v0, vcc, s8, v0
	v_mov_b32_e32 v2, s7
	v_addc_co_u32_e32 v1, vcc, v1, v2, vcc
	s_movk_i32 s0, 0x6000
	v_add_co_u32_e32 v2, vcc, s0, v244
	v_addc_co_u32_e32 v3, vcc, 0, v245, vcc
	global_load_dwordx4 v[84:87], v[0:1], off
	global_load_dwordx4 v[44:47], v[2:3], off offset:2640
	v_add_co_u32_e32 v0, vcc, s8, v0
	v_mov_b32_e32 v2, s7
	v_addc_co_u32_e32 v1, vcc, v1, v2, vcc
	s_mov_b32 s0, 0x8000
	v_add_co_u32_e32 v2, vcc, s0, v244
	v_addc_co_u32_e32 v3, vcc, 0, v245, vcc
	global_load_dwordx4 v[88:91], v[0:1], off
	global_load_dwordx4 v[20:23], v[2:3], off offset:2224
	v_add_co_u32_e32 v0, vcc, s8, v0
	v_mov_b32_e32 v2, s7
	v_addc_co_u32_e32 v1, vcc, v1, v2, vcc
	s_mov_b32 s0, 0xa000
	global_load_dwordx4 v[92:95], v[0:1], off
	v_add_co_u32_e32 v0, vcc, s0, v244
	s_waitcnt vmcnt(21)
	v_mov_b32_e32 v11, v7
	v_addc_co_u32_e32 v1, vcc, 0, v245, vcc
	v_mov_b32_e32 v10, v6
	v_mov_b32_e32 v9, v5
	;; [unrolled: 1-line block ×3, first 2 shown]
	global_load_dwordx4 v[16:19], v[0:1], off offset:1808
	s_nop 0
	buffer_store_dword v8, off, s[20:23], 0 offset:112 ; 4-byte Folded Spill
	s_nop 0
	buffer_store_dword v9, off, s[20:23], 0 offset:116 ; 4-byte Folded Spill
	buffer_store_dword v10, off, s[20:23], 0 offset:120 ; 4-byte Folded Spill
	;; [unrolled: 1-line block ×3, first 2 shown]
	s_waitcnt vmcnt(25)
	buffer_store_dword v12, off, s[20:23], 0 offset:96 ; 4-byte Folded Spill
	s_nop 0
	buffer_store_dword v13, off, s[20:23], 0 offset:100 ; 4-byte Folded Spill
	buffer_store_dword v14, off, s[20:23], 0 offset:104 ; 4-byte Folded Spill
	;; [unrolled: 1-line block ×3, first 2 shown]
	s_load_dwordx4 s[8:11], s[10:11], 0x0
	v_add_co_u32_e32 v192, vcc, s6, v32
	s_mov_b32 s6, 0xe8584caa
	s_mov_b32 s7, 0x3febb67a
	;; [unrolled: 1-line block ×4, first 2 shown]
	s_movk_i32 s0, 0xab
	s_movk_i32 s16, 0x50
	v_mov_b32_e32 v208, s3
	s_mov_b32 s17, 0xe38f
	v_mul_f64 v[0:1], v[50:51], v[10:11]
	v_mul_f64 v[2:3], v[48:49], v[10:11]
	s_waitcnt vmcnt(28)
	v_mul_f64 v[4:5], v[54:55], v[14:15]
	v_mul_f64 v[6:7], v[52:53], v[14:15]
	s_waitcnt vmcnt(20)
	v_mul_f64 v[14:15], v[68:69], v[252:253]
	v_fma_f64 v[48:49], v[48:49], v[8:9], v[0:1]
	v_fma_f64 v[50:51], v[50:51], v[8:9], -v[2:3]
	v_fma_f64 v[52:53], v[52:53], v[12:13], v[4:5]
	v_fma_f64 v[54:55], v[54:55], v[12:13], -v[6:7]
	ds_write_b128 v241, v[48:51]
	ds_write_b128 v241, v[52:55] offset:7776
	buffer_store_dword v24, off, s[20:23], 0 offset:80 ; 4-byte Folded Spill
	s_nop 0
	buffer_store_dword v25, off, s[20:23], 0 offset:84 ; 4-byte Folded Spill
	buffer_store_dword v26, off, s[20:23], 0 offset:88 ; 4-byte Folded Spill
	buffer_store_dword v27, off, s[20:23], 0 offset:92 ; 4-byte Folded Spill
	buffer_store_dword v28, off, s[20:23], 0 offset:64 ; 4-byte Folded Spill
	s_nop 0
	buffer_store_dword v29, off, s[20:23], 0 offset:68 ; 4-byte Folded Spill
	buffer_store_dword v30, off, s[20:23], 0 offset:72 ; 4-byte Folded Spill
	buffer_store_dword v31, off, s[20:23], 0 offset:76 ; 4-byte Folded Spill
	;; [unrolled: 5-line block ×3, first 2 shown]
	s_waitcnt vmcnt(30)
	buffer_store_dword v100, off, s[20:23], 0 offset:32 ; 4-byte Folded Spill
	s_nop 0
	buffer_store_dword v101, off, s[20:23], 0 offset:36 ; 4-byte Folded Spill
	buffer_store_dword v102, off, s[20:23], 0 offset:40 ; 4-byte Folded Spill
	;; [unrolled: 1-line block ×3, first 2 shown]
	v_mul_f64 v[12:13], v[70:71], v[252:253]
	v_mul_f64 v[0:1], v[58:59], v[26:27]
	;; [unrolled: 1-line block ×7, first 2 shown]
	v_fma_f64 v[48:49], v[56:57], v[24:25], v[0:1]
	v_fma_f64 v[50:51], v[58:59], v[24:25], -v[2:3]
	v_fma_f64 v[52:53], v[60:61], v[28:29], v[4:5]
	v_fma_f64 v[54:55], v[62:63], v[28:29], -v[6:7]
	v_fma_f64 v[56:57], v[64:65], v[96:97], v[8:9]
	v_fma_f64 v[58:59], v[66:67], v[96:97], -v[10:11]
	v_fma_f64 v[60:61], v[68:69], v[250:251], v[12:13]
	v_fma_f64 v[62:63], v[70:71], v[250:251], -v[14:15]
	ds_write_b128 v241, v[48:51] offset:15552
	ds_write_b128 v241, v[52:55] offset:23328
	;; [unrolled: 1-line block ×4, first 2 shown]
	s_waitcnt vmcnt(26)
	v_mul_f64 v[8:9], v[90:91], v[22:23]
	v_mul_f64 v[10:11], v[88:89], v[22:23]
	s_waitcnt vmcnt(24)
	v_mul_f64 v[12:13], v[94:95], v[18:19]
	v_mul_f64 v[14:15], v[92:93], v[18:19]
	buffer_store_dword v16, off, s[20:23], 0 ; 4-byte Folded Spill
	s_nop 0
	buffer_store_dword v17, off, s[20:23], 0 offset:4 ; 4-byte Folded Spill
	buffer_store_dword v18, off, s[20:23], 0 offset:8 ; 4-byte Folded Spill
	;; [unrolled: 1-line block ×4, first 2 shown]
	s_nop 0
	buffer_store_dword v21, off, s[20:23], 0 offset:20 ; 4-byte Folded Spill
	buffer_store_dword v22, off, s[20:23], 0 offset:24 ; 4-byte Folded Spill
	;; [unrolled: 1-line block ×3, first 2 shown]
	v_mul_f64 v[0:1], v[74:75], v[102:103]
	v_mul_f64 v[2:3], v[72:73], v[102:103]
	;; [unrolled: 1-line block ×4, first 2 shown]
	v_fma_f64 v[48:49], v[72:73], v[100:101], v[0:1]
	v_fma_f64 v[50:51], v[74:75], v[100:101], -v[2:3]
	v_mul_f64 v[0:1], v[82:83], v[42:43]
	v_mul_f64 v[2:3], v[80:81], v[42:43]
	v_fma_f64 v[52:53], v[76:77], v[36:37], v[4:5]
	v_fma_f64 v[54:55], v[78:79], v[36:37], -v[6:7]
	v_mul_f64 v[4:5], v[86:87], v[46:47]
	v_mul_f64 v[6:7], v[84:85], v[46:47]
	v_fma_f64 v[56:57], v[80:81], v[40:41], v[0:1]
	v_fma_f64 v[58:59], v[82:83], v[40:41], -v[2:3]
	v_fma_f64 v[60:61], v[84:85], v[44:45], v[4:5]
	v_fma_f64 v[62:63], v[86:87], v[44:45], -v[6:7]
	v_fma_f64 v[68:69], v[92:93], v[16:17], v[12:13]
	v_fma_f64 v[64:65], v[88:89], v[20:21], v[8:9]
	v_fma_f64 v[66:67], v[90:91], v[20:21], -v[10:11]
	v_fma_f64 v[70:71], v[94:95], v[16:17], -v[14:15]
	ds_write_b128 v241, v[48:51] offset:3888
	ds_write_b128 v241, v[52:55] offset:11664
	;; [unrolled: 1-line block ×6, first 2 shown]
	s_waitcnt vmcnt(0) lgkmcnt(0)
	s_barrier
	ds_read_b128 v[48:51], v241
	ds_read_b128 v[52:55], v241 offset:15552
	ds_read_b128 v[56:59], v241 offset:31104
	ds_read_b128 v[60:63], v241 offset:7776
	ds_read_b128 v[64:67], v241 offset:23328
	ds_read_b128 v[68:71], v241 offset:38880
	ds_read_b128 v[72:75], v241 offset:3888
	s_waitcnt lgkmcnt(4)
	v_add_f64 v[0:1], v[52:53], v[56:57]
	v_add_f64 v[8:9], v[54:55], -v[58:59]
	v_add_f64 v[16:17], v[54:55], v[58:59]
	s_waitcnt lgkmcnt(1)
	v_add_f64 v[4:5], v[64:65], v[68:69]
	v_add_f64 v[6:7], v[66:67], v[70:71]
	v_add_f64 v[10:11], v[66:67], -v[70:71]
	v_add_f64 v[12:13], v[64:65], -v[68:69]
	v_add_f64 v[2:3], v[48:49], v[52:53]
	v_fma_f64 v[0:1], v[0:1], -0.5, v[48:49]
	v_add_f64 v[20:21], v[50:51], v[54:55]
	v_add_f64 v[48:49], v[62:63], v[66:67]
	v_fma_f64 v[4:5], v[4:5], -0.5, v[60:61]
	v_fma_f64 v[6:7], v[6:7], -0.5, v[62:63]
	ds_read_b128 v[76:79], v241 offset:11664
	ds_read_b128 v[80:83], v241 offset:19440
	;; [unrolled: 1-line block ×4, first 2 shown]
	v_fma_f64 v[14:15], v[8:9], s[6:7], v[0:1]
	v_fma_f64 v[0:1], v[8:9], s[12:13], v[0:1]
	v_add_f64 v[2:3], v[2:3], v[56:57]
	v_fma_f64 v[18:19], v[10:11], s[12:13], v[4:5]
	v_fma_f64 v[8:9], v[12:13], s[12:13], v[6:7]
	;; [unrolled: 1-line block ×4, first 2 shown]
	v_fma_f64 v[10:11], v[16:17], -0.5, v[50:51]
	v_add_f64 v[12:13], v[52:53], -v[56:57]
	v_add_f64 v[16:17], v[60:61], v[64:65]
	v_add_f64 v[20:21], v[20:21], v[58:59]
	v_mul_f64 v[24:25], v[18:19], -0.5
	v_mul_f64 v[22:23], v[8:9], s[6:7]
	v_mul_f64 v[50:51], v[4:5], s[12:13]
	v_mul_f64 v[52:53], v[6:7], -0.5
	v_fma_f64 v[94:95], v[12:13], s[12:13], v[10:11]
	v_add_f64 v[16:17], v[16:17], v[68:69]
	v_fma_f64 v[10:11], v[12:13], s[6:7], v[10:11]
	v_fma_f64 v[6:7], v[6:7], s[6:7], v[24:25]
	v_fma_f64 v[4:5], v[4:5], 0.5, v[22:23]
	v_add_f64 v[22:23], v[48:49], v[70:71]
	v_fma_f64 v[8:9], v[8:9], 0.5, v[50:51]
	ds_read_b128 v[48:51], v241 offset:42768
	v_fma_f64 v[12:13], v[18:19], s[12:13], v[52:53]
	s_waitcnt lgkmcnt(1)
	v_add_f64 v[18:19], v[80:81], v[88:89]
	v_add_f64 v[52:53], v[2:3], v[16:17]
	;; [unrolled: 1-line block ×3, first 2 shown]
	s_waitcnt lgkmcnt(0)
	v_add_f64 v[24:25], v[84:85], v[48:49]
	v_add_f64 v[66:67], v[86:87], v[50:51]
	;; [unrolled: 1-line block ×3, first 2 shown]
	v_add_f64 v[64:65], v[2:3], -v[16:17]
	v_add_f64 v[68:69], v[14:15], -v[4:5]
	;; [unrolled: 1-line block ×3, first 2 shown]
	v_fma_f64 v[2:3], v[18:19], -0.5, v[72:73]
	v_add_f64 v[4:5], v[82:83], -v[90:91]
	v_fma_f64 v[6:7], v[24:25], -0.5, v[76:77]
	v_fma_f64 v[14:15], v[66:67], -0.5, v[78:79]
	v_add_f64 v[16:17], v[84:85], -v[48:49]
	v_add_f64 v[18:19], v[86:87], -v[50:51]
	v_add_f64 v[54:55], v[20:21], v[22:23]
	v_add_f64 v[24:25], v[82:83], v[90:91]
	v_add_f64 v[66:67], v[20:21], -v[22:23]
	v_add_f64 v[22:23], v[74:75], v[82:83]
	v_fma_f64 v[20:21], v[4:5], s[6:7], v[2:3]
	v_fma_f64 v[2:3], v[4:5], s[12:13], v[2:3]
	;; [unrolled: 1-line block ×6, first 2 shown]
	v_add_f64 v[0:1], v[72:73], v[80:81]
	v_fma_f64 v[24:25], v[24:25], -0.5, v[74:75]
	v_add_f64 v[16:17], v[80:81], -v[88:89]
	v_add_f64 v[18:19], v[22:23], v[90:91]
	v_add_f64 v[22:23], v[76:77], v[84:85]
	;; [unrolled: 1-line block ×3, first 2 shown]
	v_mul_f64 v[72:73], v[4:5], s[6:7]
	v_mul_f64 v[78:79], v[6:7], s[12:13]
	v_mul_f64 v[74:75], v[70:71], -0.5
	v_mul_f64 v[80:81], v[14:15], -0.5
	v_add_f64 v[0:1], v[0:1], v[88:89]
	v_fma_f64 v[86:87], v[16:17], s[12:13], v[24:25]
	v_fma_f64 v[16:17], v[16:17], s[6:7], v[24:25]
	v_add_f64 v[22:23], v[22:23], v[48:49]
	v_add_f64 v[24:25], v[76:77], v[50:51]
	v_fma_f64 v[6:7], v[6:7], 0.5, v[72:73]
	v_fma_f64 v[4:5], v[4:5], 0.5, v[78:79]
	v_fma_f64 v[14:15], v[14:15], s[6:7], v[74:75]
	v_fma_f64 v[90:91], v[70:71], s[12:13], v[80:81]
	v_add_f64 v[58:59], v[94:95], v[8:9]
	v_add_f64 v[62:63], v[10:11], v[12:13]
	;; [unrolled: 1-line block ×8, first 2 shown]
	v_add_f64 v[80:81], v[0:1], -v[22:23]
	v_add_f64 v[82:83], v[18:19], -v[24:25]
	;; [unrolled: 1-line block ×8, first 2 shown]
	v_mul_lo_u16_e32 v0, 6, v32
	v_lshlrev_b32_e32 v247, 4, v0
	v_mul_u32_u24_e32 v0, 6, v192
	v_lshlrev_b32_e32 v246, 4, v0
	v_mul_lo_u16_sdwa v0, v32, s0 dst_sel:DWORD dst_unused:UNUSED_PAD src0_sel:BYTE_0 src1_sel:DWORD
	s_barrier
	ds_write_b128 v247, v[52:55]
	ds_write_b128 v247, v[56:59] offset:16
	ds_write_b128 v247, v[60:63] offset:32
	;; [unrolled: 1-line block ×5, first 2 shown]
	ds_write_b128 v246, v[48:51]
	ds_write_b128 v246, v[72:75] offset:16
	ds_write_b128 v246, v[76:79] offset:32
	;; [unrolled: 1-line block ×5, first 2 shown]
	v_lshrrev_b16_e32 v88, 10, v0
	v_mul_lo_u16_e32 v0, 6, v88
	v_sub_u16_e32 v0, v32, v0
	v_and_b32_e32 v89, 0xff, v0
	v_mov_b32_e32 v0, s2
	v_mov_b32_e32 v1, s3
	v_mad_u64_u32 v[0:1], s[0:1], v89, s16, v[0:1]
	s_waitcnt lgkmcnt(0)
	s_barrier
	global_load_dwordx4 v[60:63], v[0:1], off
	global_load_dwordx4 v[56:59], v[0:1], off offset:16
	global_load_dwordx4 v[48:51], v[0:1], off offset:48
	global_load_dwordx4 v[52:55], v[0:1], off offset:32
	global_load_dwordx4 v[64:67], v[0:1], off offset:64
	s_mov_b32 s0, 0xaaab
	v_mul_u32_u24_sdwa v0, v192, s0 dst_sel:DWORD dst_unused:UNUSED_PAD src0_sel:WORD_0 src1_sel:DWORD
	v_lshrrev_b32_e32 v90, 18, v0
	v_mul_lo_u16_e32 v0, 6, v90
	v_sub_u16_e32 v91, v192, v0
	v_mul_lo_u16_e32 v0, 0x50, v91
	v_add_co_u32_e64 v0, s[0:1], s2, v0
	v_addc_co_u32_e64 v1, s[0:1], 0, v208, s[0:1]
	global_load_dwordx4 v[80:83], v[0:1], off
	global_load_dwordx4 v[76:79], v[0:1], off offset:16
	global_load_dwordx4 v[72:75], v[0:1], off offset:32
	;; [unrolled: 1-line block ×4, first 2 shown]
	ds_read_b128 v[92:95], v241
	ds_read_b128 v[96:99], v241 offset:7776
	ds_read_b128 v[100:103], v241 offset:15552
	;; [unrolled: 1-line block ×11, first 2 shown]
	s_waitcnt vmcnt(0) lgkmcnt(0)
	s_barrier
	s_movk_i32 s0, 0x1e6
	v_add_co_u32_e64 v200, s[0:1], s0, v32
	s_movk_i32 s0, 0x2d9
	v_add_co_u32_e64 v209, s[0:1], s0, v32
	v_mul_f64 v[0:1], v[98:99], v[62:63]
	v_mul_f64 v[2:3], v[96:97], v[62:63]
	;; [unrolled: 1-line block ×9, first 2 shown]
	v_fma_f64 v[0:1], v[96:97], v[60:61], -v[0:1]
	v_fma_f64 v[2:3], v[98:99], v[60:61], v[2:3]
	v_fma_f64 v[4:5], v[100:101], v[56:57], -v[4:5]
	v_mul_f64 v[14:15], v[108:109], v[50:51]
	v_fma_f64 v[8:9], v[104:105], v[52:53], -v[8:9]
	v_fma_f64 v[10:11], v[106:107], v[52:53], v[10:11]
	v_fma_f64 v[12:13], v[108:109], v[48:49], -v[12:13]
	v_mul_f64 v[20:21], v[122:123], v[82:83]
	v_fma_f64 v[16:17], v[112:113], v[64:65], -v[16:17]
	v_fma_f64 v[18:19], v[114:115], v[64:65], v[18:19]
	v_mul_f64 v[96:97], v[124:125], v[78:79]
	v_mul_f64 v[98:99], v[130:131], v[74:75]
	;; [unrolled: 1-line block ×3, first 2 shown]
	v_fma_f64 v[6:7], v[102:103], v[56:57], v[6:7]
	v_fma_f64 v[14:15], v[110:111], v[48:49], v[14:15]
	v_mul_f64 v[22:23], v[120:121], v[82:83]
	v_mul_f64 v[24:25], v[126:127], v[78:79]
	v_fma_f64 v[20:21], v[120:121], v[80:81], -v[20:21]
	v_mul_f64 v[102:103], v[134:135], v[70:71]
	v_mul_f64 v[104:105], v[132:133], v[70:71]
	v_fma_f64 v[110:111], v[126:127], v[76:77], v[96:97]
	v_fma_f64 v[114:115], v[128:129], v[72:73], -v[98:99]
	v_add_f64 v[96:97], v[4:5], v[12:13]
	v_fma_f64 v[120:121], v[130:131], v[72:73], v[100:101]
	v_add_f64 v[98:99], v[8:9], v[16:17]
	v_add_f64 v[100:101], v[10:11], v[18:19]
	v_fma_f64 v[22:23], v[122:123], v[80:81], v[22:23]
	v_fma_f64 v[24:25], v[124:125], v[76:77], -v[24:25]
	v_fma_f64 v[122:123], v[132:133], v[68:69], -v[102:103]
	v_fma_f64 v[124:125], v[134:135], v[68:69], v[104:105]
	v_mul_f64 v[102:103], v[138:139], v[86:87]
	v_add_f64 v[104:105], v[92:93], v[4:5]
	v_fma_f64 v[92:93], v[96:97], -0.5, v[92:93]
	v_add_f64 v[96:97], v[6:7], -v[14:15]
	v_fma_f64 v[98:99], v[98:99], -0.5, v[0:1]
	v_fma_f64 v[100:101], v[100:101], -0.5, v[2:3]
	v_add_f64 v[106:107], v[8:9], -v[16:17]
	v_add_f64 v[108:109], v[10:11], -v[18:19]
	v_fma_f64 v[126:127], v[136:137], v[84:85], -v[102:103]
	v_mul_f64 v[102:103], v[136:137], v[86:87]
	v_add_f64 v[0:1], v[0:1], v[8:9]
	v_fma_f64 v[128:129], v[96:97], s[6:7], v[92:93]
	v_fma_f64 v[130:131], v[96:97], s[12:13], v[92:93]
	v_add_f64 v[112:113], v[6:7], v[14:15]
	v_fma_f64 v[92:93], v[106:107], s[12:13], v[100:101]
	v_fma_f64 v[96:97], v[108:109], s[12:13], v[98:99]
	v_add_f64 v[104:105], v[104:105], v[12:13]
	v_add_f64 v[6:7], v[94:95], v[6:7]
	v_fma_f64 v[98:99], v[108:109], s[6:7], v[98:99]
	v_fma_f64 v[100:101], v[106:107], s[6:7], v[100:101]
	v_add_f64 v[4:5], v[4:5], -v[12:13]
	v_add_f64 v[2:3], v[2:3], v[10:11]
	v_mul_f64 v[8:9], v[92:93], s[6:7]
	v_mul_f64 v[12:13], v[96:97], -0.5
	v_add_f64 v[0:1], v[0:1], v[16:17]
	v_fma_f64 v[16:17], v[138:139], v[84:85], v[102:103]
	v_mul_f64 v[10:11], v[98:99], s[12:13]
	v_add_f64 v[6:7], v[6:7], v[14:15]
	v_mul_f64 v[14:15], v[100:101], -0.5
	v_add_f64 v[2:3], v[2:3], v[18:19]
	v_fma_f64 v[8:9], v[98:99], 0.5, v[8:9]
	v_fma_f64 v[12:13], v[100:101], s[6:7], v[12:13]
	v_add_f64 v[18:19], v[24:25], v[122:123]
	v_add_f64 v[106:107], v[114:115], v[126:127]
	;; [unrolled: 1-line block ×3, first 2 shown]
	v_fma_f64 v[94:95], v[112:113], -0.5, v[94:95]
	v_fma_f64 v[10:11], v[92:93], 0.5, v[10:11]
	v_fma_f64 v[14:15], v[96:97], s[12:13], v[14:15]
	v_add_f64 v[92:93], v[104:105], v[0:1]
	v_add_f64 v[96:97], v[128:129], v[8:9]
	v_add_f64 v[100:101], v[130:131], v[12:13]
	v_add_f64 v[104:105], v[104:105], -v[0:1]
	v_add_f64 v[108:109], v[128:129], -v[8:9]
	;; [unrolled: 1-line block ×3, first 2 shown]
	v_add_f64 v[0:1], v[116:117], v[24:25]
	v_fma_f64 v[8:9], v[18:19], -0.5, v[116:117]
	v_add_f64 v[12:13], v[110:111], -v[124:125]
	v_fma_f64 v[18:19], v[106:107], -0.5, v[20:21]
	v_fma_f64 v[116:117], v[134:135], -0.5, v[22:23]
	v_add_f64 v[128:129], v[114:115], -v[126:127]
	v_add_f64 v[130:131], v[120:121], -v[16:17]
	v_fma_f64 v[132:133], v[4:5], s[12:13], v[94:95]
	v_fma_f64 v[4:5], v[4:5], s[6:7], v[94:95]
	v_add_f64 v[94:95], v[6:7], v[2:3]
	v_add_f64 v[134:135], v[110:111], v[124:125]
	v_add_f64 v[106:107], v[6:7], -v[2:3]
	v_fma_f64 v[2:3], v[12:13], s[6:7], v[8:9]
	v_add_f64 v[6:7], v[118:119], v[110:111]
	v_fma_f64 v[8:9], v[12:13], s[12:13], v[8:9]
	v_fma_f64 v[12:13], v[128:129], s[12:13], v[116:117]
	;; [unrolled: 1-line block ×5, first 2 shown]
	v_add_f64 v[20:21], v[20:21], v[114:115]
	v_add_f64 v[22:23], v[22:23], v[120:121]
	v_fma_f64 v[118:119], v[134:135], -0.5, v[118:119]
	v_add_f64 v[24:25], v[24:25], -v[122:123]
	v_mul_f64 v[114:115], v[12:13], s[6:7]
	v_add_f64 v[0:1], v[0:1], v[122:123]
	v_mul_f64 v[120:121], v[18:19], s[12:13]
	v_add_f64 v[6:7], v[6:7], v[124:125]
	v_mul_f64 v[122:123], v[110:111], -0.5
	v_mul_f64 v[124:125], v[116:117], -0.5
	v_add_f64 v[20:21], v[20:21], v[126:127]
	v_add_f64 v[16:17], v[22:23], v[16:17]
	v_fma_f64 v[134:135], v[24:25], s[12:13], v[118:119]
	v_fma_f64 v[18:19], v[18:19], 0.5, v[114:115]
	v_fma_f64 v[12:13], v[12:13], 0.5, v[120:121]
	v_fma_f64 v[24:25], v[24:25], s[6:7], v[118:119]
	v_fma_f64 v[130:131], v[116:117], s[6:7], v[122:123]
	;; [unrolled: 1-line block ×3, first 2 shown]
	v_add_f64 v[116:117], v[0:1], v[20:21]
	v_add_f64 v[128:129], v[0:1], -v[20:21]
	v_mul_u32_u24_e32 v0, 36, v88
	v_add_f64 v[118:119], v[6:7], v[16:17]
	v_add_lshl_u32 v248, v0, v89, 4
	v_mad_legacy_u16 v0, v90, 36, v91
	v_add_f64 v[98:99], v[132:133], v[10:11]
	v_add_f64 v[120:121], v[2:3], v[18:19]
	;; [unrolled: 1-line block ×3, first 2 shown]
	v_lshlrev_b32_e32 v249, 4, v0
	v_mov_b32_e32 v0, 57
	v_add_f64 v[102:103], v[4:5], v[14:15]
	v_add_f64 v[124:125], v[8:9], v[130:131]
	;; [unrolled: 1-line block ×3, first 2 shown]
	v_mul_lo_u16_sdwa v0, v32, v0 dst_sel:DWORD dst_unused:UNUSED_PAD src0_sel:BYTE_0 src1_sel:DWORD
	v_add_f64 v[136:137], v[8:9], -v[130:131]
	v_add_f64 v[130:131], v[6:7], -v[16:17]
	v_lshrrev_b16_e32 v26, 11, v0
	v_add_f64 v[110:111], v[132:133], -v[10:11]
	v_add_f64 v[132:133], v[2:3], -v[18:19]
	;; [unrolled: 1-line block ×3, first 2 shown]
	v_mul_lo_u16_e32 v0, 36, v26
	v_add_f64 v[114:115], v[4:5], -v[14:15]
	v_add_f64 v[138:139], v[24:25], -v[22:23]
	v_sub_u16_e32 v0, v32, v0
	v_and_b32_e32 v27, 0xff, v0
	v_lshlrev_b32_e32 v0, 5, v27
	ds_write_b128 v248, v[92:95]
	ds_write_b128 v248, v[96:99] offset:96
	ds_write_b128 v248, v[100:103] offset:192
	;; [unrolled: 1-line block ×5, first 2 shown]
	ds_write_b128 v249, v[116:119]
	ds_write_b128 v249, v[120:123] offset:96
	ds_write_b128 v249, v[124:127] offset:192
	;; [unrolled: 1-line block ×5, first 2 shown]
	s_waitcnt lgkmcnt(0)
	s_barrier
	global_load_dwordx4 v[88:91], v0, s[2:3] offset:496
	global_load_dwordx4 v[92:95], v0, s[2:3] offset:480
	v_mul_u32_u24_sdwa v0, v192, s17 dst_sel:DWORD dst_unused:UNUSED_PAD src0_sel:WORD_0 src1_sel:DWORD
	v_lshrrev_b32_e32 v28, 21, v0
	v_mul_lo_u16_e32 v0, 36, v28
	v_sub_u16_e32 v29, v192, v0
	v_lshlrev_b16_e32 v0, 5, v29
	v_add_co_u32_e64 v0, s[0:1], s2, v0
	v_addc_co_u32_e64 v1, s[0:1], 0, v208, s[0:1]
	global_load_dwordx4 v[96:99], v[0:1], off offset:496
	global_load_dwordx4 v[104:107], v[0:1], off offset:480
	v_mul_u32_u24_sdwa v0, v200, s17 dst_sel:DWORD dst_unused:UNUSED_PAD src0_sel:WORD_0 src1_sel:DWORD
	v_lshrrev_b32_e32 v30, 21, v0
	v_mul_lo_u16_e32 v0, 36, v30
	v_sub_u16_e32 v31, v200, v0
	v_lshlrev_b16_e32 v0, 5, v31
	v_add_co_u32_e64 v0, s[0:1], s2, v0
	v_addc_co_u32_e64 v1, s[0:1], 0, v208, s[0:1]
	global_load_dwordx4 v[100:103], v[0:1], off offset:496
	global_load_dwordx4 v[112:115], v[0:1], off offset:480
	v_mul_u32_u24_sdwa v0, v209, s17 dst_sel:DWORD dst_unused:UNUSED_PAD src0_sel:WORD_0 src1_sel:DWORD
	v_lshrrev_b32_e32 v33, 21, v0
	v_mul_lo_u16_e32 v0, 36, v33
	v_sub_u16_e32 v34, v209, v0
	v_lshlrev_b16_e32 v0, 5, v34
	v_add_co_u32_e64 v0, s[0:1], s2, v0
	v_addc_co_u32_e64 v1, s[0:1], 0, v208, s[0:1]
	global_load_dwordx4 v[116:119], v[0:1], off offset:480
	global_load_dwordx4 v[108:111], v[0:1], off offset:496
	ds_read_b128 v[120:123], v241
	ds_read_b128 v[124:127], v241 offset:15552
	ds_read_b128 v[128:131], v241 offset:31104
	;; [unrolled: 1-line block ×11, first 2 shown]
	s_movk_i32 s0, 0x6c
	s_waitcnt vmcnt(0) lgkmcnt(0)
	s_barrier
	v_mul_f64 v[4:5], v[130:131], v[90:91]
	v_mul_f64 v[0:1], v[126:127], v[94:95]
	;; [unrolled: 1-line block ×4, first 2 shown]
	v_fma_f64 v[4:5], v[128:129], v[88:89], -v[4:5]
	v_fma_f64 v[0:1], v[124:125], v[92:93], -v[0:1]
	v_fma_f64 v[2:3], v[126:127], v[92:93], v[2:3]
	v_mul_f64 v[8:9], v[138:139], v[106:107]
	v_mul_f64 v[12:13], v[142:143], v[98:99]
	v_fma_f64 v[6:7], v[130:131], v[88:89], v[6:7]
	v_mul_f64 v[10:11], v[136:137], v[106:107]
	v_mul_f64 v[14:15], v[140:141], v[98:99]
	v_add_f64 v[126:127], v[0:1], v[4:5]
	v_fma_f64 v[8:9], v[136:137], v[104:105], -v[8:9]
	v_fma_f64 v[12:13], v[140:141], v[96:97], -v[12:13]
	v_mul_f64 v[18:19], v[148:149], v[114:115]
	v_mul_f64 v[16:17], v[150:151], v[114:115]
	v_add_f64 v[136:137], v[120:121], v[0:1]
	v_mul_f64 v[20:21], v[154:155], v[102:103]
	v_fma_f64 v[10:11], v[138:139], v[104:105], v[10:11]
	v_fma_f64 v[14:15], v[142:143], v[96:97], v[14:15]
	v_add_f64 v[138:139], v[2:3], -v[6:7]
	v_mul_f64 v[22:23], v[152:153], v[102:103]
	v_fma_f64 v[18:19], v[150:151], v[112:113], v[18:19]
	v_mul_f64 v[124:125], v[160:161], v[118:119]
	v_mul_f64 v[130:131], v[164:165], v[110:111]
	;; [unrolled: 1-line block ×4, first 2 shown]
	v_fma_f64 v[126:127], v[126:127], -0.5, v[120:121]
	v_add_f64 v[120:121], v[136:137], v[4:5]
	v_add_f64 v[0:1], v[0:1], -v[4:5]
	v_fma_f64 v[16:17], v[148:149], v[112:113], -v[16:17]
	v_fma_f64 v[150:151], v[162:163], v[116:117], v[124:125]
	v_add_f64 v[124:125], v[2:3], v[6:7]
	v_add_f64 v[2:3], v[122:123], v[2:3]
	v_fma_f64 v[162:163], v[166:167], v[108:109], v[130:131]
	v_add_f64 v[130:131], v[8:9], v[12:13]
	v_fma_f64 v[20:21], v[152:153], v[100:101], -v[20:21]
	v_add_f64 v[4:5], v[132:133], v[8:9]
	v_fma_f64 v[22:23], v[154:155], v[100:101], v[22:23]
	v_fma_f64 v[24:25], v[160:161], v[116:117], -v[24:25]
	v_fma_f64 v[136:137], v[124:125], -0.5, v[122:123]
	v_add_f64 v[122:123], v[2:3], v[6:7]
	v_add_f64 v[2:3], v[10:11], v[14:15]
	v_fma_f64 v[160:161], v[164:165], v[108:109], -v[128:129]
	v_fma_f64 v[124:125], v[138:139], s[6:7], v[126:127]
	v_fma_f64 v[128:129], v[138:139], s[12:13], v[126:127]
	v_fma_f64 v[6:7], v[130:131], -0.5, v[132:133]
	v_add_f64 v[140:141], v[16:17], v[20:21]
	v_fma_f64 v[126:127], v[0:1], s[12:13], v[136:137]
	v_fma_f64 v[130:131], v[0:1], s[6:7], v[136:137]
	v_add_f64 v[0:1], v[134:135], v[10:11]
	v_add_f64 v[138:139], v[10:11], -v[14:15]
	v_fma_f64 v[2:3], v[2:3], -0.5, v[134:135]
	v_add_f64 v[8:9], v[8:9], -v[12:13]
	v_add_f64 v[132:133], v[4:5], v[12:13]
	v_add_f64 v[4:5], v[144:145], v[16:17]
	v_fma_f64 v[10:11], v[140:141], -0.5, v[144:145]
	v_add_f64 v[12:13], v[18:19], -v[22:23]
	v_add_f64 v[134:135], v[0:1], v[14:15]
	v_add_f64 v[0:1], v[18:19], v[22:23]
	v_fma_f64 v[136:137], v[138:139], s[6:7], v[6:7]
	v_fma_f64 v[140:141], v[138:139], s[12:13], v[6:7]
	;; [unrolled: 1-line block ×4, first 2 shown]
	v_add_f64 v[144:145], v[4:5], v[20:21]
	v_add_f64 v[2:3], v[24:25], v[160:161]
	;; [unrolled: 1-line block ×4, first 2 shown]
	v_fma_f64 v[0:1], v[0:1], -0.5, v[146:147]
	v_add_f64 v[8:9], v[16:17], -v[20:21]
	v_fma_f64 v[148:149], v[12:13], s[6:7], v[10:11]
	v_fma_f64 v[152:153], v[12:13], s[12:13], v[10:11]
	v_add_f64 v[10:11], v[156:157], v[24:25]
	v_add_f64 v[14:15], v[158:159], v[150:151]
	v_fma_f64 v[2:3], v[2:3], -0.5, v[156:157]
	v_add_f64 v[12:13], v[150:151], -v[162:163]
	v_fma_f64 v[4:5], v[4:5], -0.5, v[158:159]
	v_add_f64 v[16:17], v[24:25], -v[160:161]
	v_add_f64 v[146:147], v[6:7], v[22:23]
	v_fma_f64 v[150:151], v[8:9], s[12:13], v[0:1]
	v_fma_f64 v[154:155], v[8:9], s[6:7], v[0:1]
	v_add_f64 v[156:157], v[10:11], v[160:161]
	v_add_f64 v[158:159], v[14:15], v[162:163]
	v_mul_u32_u24_e32 v0, 0x6c, v26
	v_fma_f64 v[160:161], v[12:13], s[6:7], v[2:3]
	v_fma_f64 v[162:163], v[16:17], s[12:13], v[4:5]
	v_add_lshl_u32 v0, v0, v27, 4
	v_fma_f64 v[164:165], v[12:13], s[12:13], v[2:3]
	v_fma_f64 v[166:167], v[16:17], s[6:7], v[4:5]
	buffer_store_dword v0, off, s[20:23], 0 offset:136 ; 4-byte Folded Spill
	ds_write_b128 v0, v[120:123]
	ds_write_b128 v0, v[124:127] offset:576
	ds_write_b128 v0, v[128:131] offset:1152
	v_mad_legacy_u16 v0, v28, s0, v29
	v_lshlrev_b32_e32 v0, 4, v0
	buffer_store_dword v0, off, s[20:23], 0 offset:140 ; 4-byte Folded Spill
	ds_write_b128 v0, v[132:135]
	ds_write_b128 v0, v[136:139] offset:576
	ds_write_b128 v0, v[140:143] offset:1152
	v_mad_legacy_u16 v0, v30, s0, v31
	v_lshlrev_b32_e32 v0, 4, v0
	;; [unrolled: 6-line block ×3, first 2 shown]
	buffer_store_dword v0, off, s[20:23], 0 offset:148 ; 4-byte Folded Spill
	ds_write_b128 v0, v[156:159]
	ds_write_b128 v0, v[160:163] offset:576
	ds_write_b128 v0, v[164:167] offset:1152
	v_mov_b32_e32 v0, 19
	v_mul_lo_u16_sdwa v0, v32, v0 dst_sel:DWORD dst_unused:UNUSED_PAD src0_sel:BYTE_0 src1_sel:DWORD
	v_lshrrev_b16_e32 v26, 11, v0
	v_mul_lo_u16_e32 v0, 0x6c, v26
	v_sub_u16_e32 v0, v32, v0
	v_and_b32_e32 v27, 0xff, v0
	v_lshlrev_b32_e32 v0, 5, v27
	s_waitcnt vmcnt(0) lgkmcnt(0)
	s_barrier
	global_load_dwordx4 v[120:123], v0, s[2:3] offset:1648
	global_load_dwordx4 v[124:127], v0, s[2:3] offset:1632
	v_lshrrev_b16_e32 v0, 2, v192
	v_mul_u32_u24_e32 v0, 0x4bdb, v0
	v_lshrrev_b32_e32 v28, 19, v0
	v_mul_lo_u16_e32 v0, 0x6c, v28
	v_sub_u16_e32 v29, v192, v0
	v_lshlrev_b16_e32 v0, 5, v29
	v_add_co_u32_e64 v0, s[0:1], s2, v0
	v_addc_co_u32_e64 v1, s[0:1], 0, v208, s[0:1]
	global_load_dwordx4 v[128:131], v[0:1], off offset:1648
	global_load_dwordx4 v[136:139], v[0:1], off offset:1632
	v_lshrrev_b16_e32 v0, 2, v200
	v_mul_u32_u24_e32 v0, 0x4bdb, v0
	v_lshrrev_b32_e32 v30, 19, v0
	v_mul_lo_u16_e32 v0, 0x6c, v30
	v_sub_u16_e32 v31, v200, v0
	v_lshlrev_b16_e32 v0, 5, v31
	v_add_co_u32_e64 v0, s[0:1], s2, v0
	v_addc_co_u32_e64 v1, s[0:1], 0, v208, s[0:1]
	global_load_dwordx4 v[132:135], v[0:1], off offset:1648
	global_load_dwordx4 v[144:147], v[0:1], off offset:1632
	;; [unrolled: 10-line block ×3, first 2 shown]
	ds_read_b128 v[152:155], v241
	ds_read_b128 v[156:159], v241 offset:15552
	ds_read_b128 v[161:164], v241 offset:31104
	;; [unrolled: 1-line block ×11, first 2 shown]
	v_addc_co_u32_e64 v160, s[0:1], 0, 0, vcc
	s_movk_i32 s0, 0x144
	s_waitcnt vmcnt(0) lgkmcnt(0)
	s_barrier
	s_movk_i32 s1, 0xffaf
	v_mul_f64 v[4:5], v[163:164], v[122:123]
	v_mul_f64 v[0:1], v[158:159], v[126:127]
	;; [unrolled: 1-line block ×4, first 2 shown]
	v_fma_f64 v[4:5], v[161:162], v[120:121], -v[4:5]
	v_fma_f64 v[0:1], v[156:157], v[124:125], -v[0:1]
	v_fma_f64 v[2:3], v[158:159], v[124:125], v[2:3]
	v_mul_f64 v[12:13], v[175:176], v[130:131]
	v_mul_f64 v[8:9], v[171:172], v[138:139]
	v_fma_f64 v[6:7], v[163:164], v[120:121], v[6:7]
	v_mul_f64 v[10:11], v[169:170], v[138:139]
	v_mul_f64 v[14:15], v[173:174], v[130:131]
	v_add_f64 v[158:159], v[0:1], v[4:5]
	v_fma_f64 v[12:13], v[173:174], v[128:129], -v[12:13]
	v_fma_f64 v[8:9], v[169:170], v[136:137], -v[8:9]
	v_add_f64 v[169:170], v[152:153], v[0:1]
	v_mul_f64 v[20:21], v[187:188], v[134:135]
	v_mul_f64 v[18:19], v[181:182], v[146:147]
	;; [unrolled: 1-line block ×3, first 2 shown]
	v_fma_f64 v[10:11], v[171:172], v[136:137], v[10:11]
	v_fma_f64 v[14:15], v[175:176], v[128:129], v[14:15]
	v_add_f64 v[171:172], v[2:3], -v[6:7]
	v_mul_f64 v[22:23], v[185:186], v[134:135]
	v_fma_f64 v[158:159], v[158:159], -0.5, v[152:153]
	v_fma_f64 v[20:21], v[185:186], v[132:133], -v[20:21]
	v_fma_f64 v[18:19], v[183:184], v[144:145], v[18:19]
	v_fma_f64 v[16:17], v[181:182], v[144:145], -v[16:17]
	v_mul_f64 v[156:157], v[201:202], v[150:151]
	v_mul_f64 v[163:164], v[210:211], v[142:143]
	;; [unrolled: 1-line block ×3, first 2 shown]
	v_add_f64 v[152:153], v[169:170], v[4:5]
	v_add_f64 v[0:1], v[0:1], -v[4:5]
	v_add_f64 v[4:5], v[165:166], v[8:9]
	v_mul_f64 v[24:25], v[203:204], v[150:151]
	v_fma_f64 v[22:23], v[187:188], v[132:133], v[22:23]
	v_fma_f64 v[183:184], v[203:204], v[148:149], v[156:157]
	v_add_f64 v[156:157], v[2:3], v[6:7]
	v_add_f64 v[2:3], v[154:155], v[2:3]
	v_fma_f64 v[197:198], v[212:213], v[140:141], v[163:164]
	v_add_f64 v[163:164], v[8:9], v[12:13]
	v_fma_f64 v[189:190], v[210:211], v[140:141], -v[161:162]
	v_fma_f64 v[161:162], v[171:172], s[12:13], v[158:159]
	v_fma_f64 v[24:25], v[201:202], v[148:149], -v[24:25]
	v_add_f64 v[8:9], v[8:9], -v[12:13]
	v_fma_f64 v[169:170], v[156:157], -0.5, v[154:155]
	v_add_f64 v[154:155], v[2:3], v[6:7]
	v_add_f64 v[2:3], v[10:11], v[14:15]
	v_fma_f64 v[156:157], v[171:172], s[6:7], v[158:159]
	v_fma_f64 v[6:7], v[163:164], -0.5, v[165:166]
	v_add_f64 v[171:172], v[10:11], -v[14:15]
	v_add_f64 v[165:166], v[4:5], v[12:13]
	v_add_f64 v[4:5], v[16:17], v[20:21]
	v_fma_f64 v[158:159], v[0:1], s[12:13], v[169:170]
	v_fma_f64 v[163:164], v[0:1], s[6:7], v[169:170]
	v_add_f64 v[0:1], v[167:168], v[10:11]
	v_fma_f64 v[2:3], v[2:3], -0.5, v[167:168]
	v_add_f64 v[10:11], v[177:178], v[16:17]
	v_fma_f64 v[169:170], v[171:172], s[6:7], v[6:7]
	v_fma_f64 v[173:174], v[171:172], s[12:13], v[6:7]
	v_fma_f64 v[4:5], v[4:5], -0.5, v[177:178]
	v_add_f64 v[6:7], v[18:19], -v[22:23]
	v_add_f64 v[12:13], v[183:184], -v[197:198]
	v_add_f64 v[167:168], v[0:1], v[14:15]
	v_add_f64 v[0:1], v[18:19], v[22:23]
	v_fma_f64 v[171:172], v[8:9], s[12:13], v[2:3]
	v_fma_f64 v[175:176], v[8:9], s[6:7], v[2:3]
	v_add_f64 v[177:178], v[10:11], v[20:21]
	v_add_f64 v[2:3], v[24:25], v[189:190]
	;; [unrolled: 1-line block ×4, first 2 shown]
	v_fma_f64 v[181:182], v[6:7], s[6:7], v[4:5]
	v_fma_f64 v[0:1], v[0:1], -0.5, v[179:180]
	v_fma_f64 v[185:186], v[6:7], s[12:13], v[4:5]
	v_add_f64 v[4:5], v[16:17], -v[20:21]
	v_add_f64 v[6:7], v[193:194], v[24:25]
	v_add_f64 v[14:15], v[195:196], v[183:184]
	v_fma_f64 v[2:3], v[2:3], -0.5, v[193:194]
	v_fma_f64 v[10:11], v[10:11], -0.5, v[195:196]
	v_add_f64 v[16:17], v[24:25], -v[189:190]
	v_add_f64 v[179:180], v[8:9], v[22:23]
	v_fma_f64 v[183:184], v[4:5], s[12:13], v[0:1]
	v_fma_f64 v[187:188], v[4:5], s[6:7], v[0:1]
	v_mul_u32_u24_e32 v0, 0x144, v26
	v_add_lshl_u32 v0, v0, v27, 4
	buffer_store_dword v0, off, s[20:23], 0 offset:152 ; 4-byte Folded Spill
	ds_write_b128 v0, v[152:155]
	ds_write_b128 v0, v[156:159] offset:1728
	ds_write_b128 v0, v[161:164] offset:3456
	v_mad_legacy_u16 v0, v28, s0, v29
	v_lshlrev_b32_e32 v0, 4, v0
	buffer_store_dword v0, off, s[20:23], 0 offset:156 ; 4-byte Folded Spill
	ds_write_b128 v0, v[165:168]
	ds_write_b128 v0, v[169:172] offset:1728
	ds_write_b128 v0, v[173:176] offset:3456
	v_mad_legacy_u16 v0, v30, s0, v31
	v_add_f64 v[193:194], v[6:7], v[189:190]
	v_add_f64 v[195:196], v[14:15], v[197:198]
	v_lshlrev_b32_e32 v254, 4, v0
	v_mad_legacy_u16 v0, v33, s0, v34
	v_fma_f64 v[201:202], v[12:13], s[6:7], v[2:3]
	v_fma_f64 v[203:204], v[16:17], s[12:13], v[10:11]
	v_lshlrev_b32_e32 v255, 4, v0
	v_lshlrev_b32_e32 v0, 5, v32
	v_fma_f64 v[210:211], v[12:13], s[12:13], v[2:3]
	v_fma_f64 v[212:213], v[16:17], s[6:7], v[10:11]
	ds_write_b128 v254, v[177:180]
	ds_write_b128 v254, v[181:184] offset:1728
	ds_write_b128 v254, v[185:188] offset:3456
	v_add_co_u32_e32 v184, vcc, s2, v0
	v_addc_co_u32_e32 v185, vcc, 0, v208, vcc
	s_movk_i32 s0, 0x13e0
	v_add_co_u32_e32 v0, vcc, s0, v184
	v_addc_co_u32_e32 v1, vcc, 0, v185, vcc
	v_add_co_u32_e32 v2, vcc, s15, v184
	v_addc_co_u32_e32 v3, vcc, 0, v185, vcc
	ds_write_b128 v255, v[193:196]
	ds_write_b128 v255, v[201:204] offset:1728
	ds_write_b128 v255, v[210:213] offset:3456
	s_waitcnt vmcnt(0) lgkmcnt(0)
	s_barrier
	global_load_dwordx4 v[156:159], v[2:3], off offset:992
	global_load_dwordx4 v[152:155], v[0:1], off offset:16
	v_add_co_u32_e32 v0, vcc, s1, v32
	s_movk_i32 s1, 0x51
	v_addc_co_u32_e64 v1, s[18:19], 0, -1, vcc
	v_cmp_gt_u16_e32 vcc, s1, v32
	v_cndmask_b32_e32 v9, v1, v160, vcc
	v_cndmask_b32_e32 v8, v0, v192, vcc
	v_lshlrev_b64 v[0:1], 5, v[8:9]
	s_movk_i32 s1, 0x6523
	v_add_co_u32_e32 v2, vcc, s2, v0
	v_addc_co_u32_e32 v3, vcc, v208, v1, vcc
	v_add_co_u32_e32 v0, vcc, s0, v2
	v_addc_co_u32_e32 v1, vcc, 0, v3, vcc
	;; [unrolled: 2-line block ×3, first 2 shown]
	global_load_dwordx4 v[164:167], v[2:3], off offset:992
	global_load_dwordx4 v[160:163], v[0:1], off offset:16
	v_mul_u32_u24_sdwa v0, v200, s1 dst_sel:DWORD dst_unused:UNUSED_PAD src0_sel:WORD_0 src1_sel:DWORD
	v_lshrrev_b32_e32 v25, 23, v0
	v_mul_lo_u16_e32 v0, 0x144, v25
	v_sub_u16_e32 v26, v200, v0
	v_lshlrev_b16_e32 v0, 5, v26
	v_add_co_u32_e32 v2, vcc, s2, v0
	v_addc_co_u32_e32 v3, vcc, 0, v208, vcc
	v_add_co_u32_e32 v0, vcc, s0, v2
	v_addc_co_u32_e32 v1, vcc, 0, v3, vcc
	;; [unrolled: 2-line block ×3, first 2 shown]
	global_load_dwordx4 v[172:175], v[2:3], off offset:992
	global_load_dwordx4 v[168:171], v[0:1], off offset:16
	v_mul_u32_u24_sdwa v0, v209, s1 dst_sel:DWORD dst_unused:UNUSED_PAD src0_sel:WORD_0 src1_sel:DWORD
	v_lshrrev_b32_e32 v0, 23, v0
	v_mul_lo_u16_e32 v0, 0x144, v0
	v_sub_u16_e32 v27, v209, v0
	v_lshlrev_b16_e32 v0, 5, v27
	v_add_co_u32_e32 v28, vcc, s2, v0
	v_addc_co_u32_e32 v29, vcc, 0, v208, vcc
	v_add_co_u32_e32 v0, vcc, s15, v28
	v_addc_co_u32_e32 v1, vcc, 0, v29, vcc
	global_load_dwordx4 v[176:179], v[0:1], off offset:992
	ds_read_b128 v[180:183], v241 offset:15552
	ds_read_b128 v[186:189], v241 offset:31104
	;; [unrolled: 1-line block ×5, first 2 shown]
	v_add_co_u32_e32 v190, vcc, s0, v28
	v_addc_co_u32_e32 v191, vcc, 0, v29, vcc
	ds_read_b128 v[222:225], v241 offset:7776
	ds_read_b128 v[234:237], v241 offset:11664
	v_cmp_lt_u16_e32 vcc, s16, v32
	s_movk_i32 s0, 0x3cc
	v_lshlrev_b32_e32 v240, 4, v27
	s_waitcnt vmcnt(6) lgkmcnt(6)
	v_mul_f64 v[0:1], v[182:183], v[158:159]
	v_mul_f64 v[2:3], v[180:181], v[158:159]
	s_waitcnt vmcnt(5) lgkmcnt(5)
	v_mul_f64 v[4:5], v[188:189], v[154:155]
	v_mul_f64 v[6:7], v[186:187], v[154:155]
	v_fma_f64 v[0:1], v[180:181], v[156:157], -v[0:1]
	v_fma_f64 v[2:3], v[182:183], v[156:157], v[2:3]
	ds_read_b128 v[180:183], v241 offset:38880
	v_fma_f64 v[4:5], v[186:187], v[152:153], -v[4:5]
	v_fma_f64 v[6:7], v[188:189], v[152:153], v[6:7]
	ds_read_b128 v[186:189], v241 offset:27216
	s_waitcnt vmcnt(4) lgkmcnt(6)
	v_mul_f64 v[9:10], v[195:196], v[166:167]
	v_mul_f64 v[11:12], v[193:194], v[166:167]
	s_waitcnt vmcnt(3) lgkmcnt(5)
	v_mul_f64 v[13:14], v[203:204], v[162:163]
	v_mul_f64 v[15:16], v[201:202], v[162:163]
	v_fma_f64 v[9:10], v[193:194], v[164:165], -v[9:10]
	v_add_f64 v[193:194], v[0:1], v[4:5]
	v_fma_f64 v[11:12], v[195:196], v[164:165], v[11:12]
	v_fma_f64 v[13:14], v[201:202], v[160:161], -v[13:14]
	v_fma_f64 v[15:16], v[203:204], v[160:161], v[15:16]
	s_waitcnt vmcnt(2) lgkmcnt(4)
	v_mul_f64 v[17:18], v[212:213], v[174:175]
	v_mul_f64 v[19:20], v[210:211], v[174:175]
	v_fma_f64 v[17:18], v[210:211], v[172:173], -v[17:18]
	v_fma_f64 v[19:20], v[212:213], v[172:173], v[19:20]
	ds_read_b128 v[210:213], v241 offset:3888
	s_waitcnt vmcnt(1) lgkmcnt(2)
	v_mul_f64 v[21:22], v[182:183], v[170:171]
	v_mul_f64 v[23:24], v[180:181], v[170:171]
	v_fma_f64 v[21:22], v[180:181], v[168:169], -v[21:22]
	v_fma_f64 v[23:24], v[182:183], v[168:169], v[23:24]
	s_waitcnt vmcnt(0) lgkmcnt(1)
	v_mul_f64 v[180:181], v[188:189], v[178:179]
	v_mul_f64 v[182:183], v[186:187], v[178:179]
	v_fma_f64 v[197:198], v[186:187], v[176:177], -v[180:181]
	v_fma_f64 v[205:206], v[188:189], v[176:177], v[182:183]
	global_load_dwordx4 v[180:183], v[190:191], off offset:16
	ds_read_b128 v[186:189], v241 offset:42768
	s_waitcnt vmcnt(0) lgkmcnt(0)
	v_mul_f64 v[190:191], v[188:189], v[182:183]
	v_fma_f64 v[190:191], v[186:187], v[180:181], -v[190:191]
	v_mul_f64 v[186:187], v[186:187], v[182:183]
	v_fma_f64 v[238:239], v[188:189], v[180:181], v[186:187]
	ds_read_b128 v[186:189], v241
	s_waitcnt lgkmcnt(0)
	s_barrier
	v_fma_f64 v[195:196], v[193:194], -0.5, v[186:187]
	v_add_f64 v[193:194], v[2:3], v[6:7]
	v_add_f64 v[186:187], v[186:187], v[0:1]
	v_add_f64 v[0:1], v[0:1], -v[4:5]
	v_fma_f64 v[203:204], v[193:194], -0.5, v[188:189]
	v_add_f64 v[188:189], v[188:189], v[2:3]
	v_add_f64 v[2:3], v[2:3], -v[6:7]
	v_add_f64 v[186:187], v[186:187], v[4:5]
	v_add_f64 v[4:5], v[212:213], v[11:12]
	v_add_f64 v[188:189], v[188:189], v[6:7]
	v_fma_f64 v[193:194], v[2:3], s[6:7], v[195:196]
	v_fma_f64 v[201:202], v[2:3], s[12:13], v[195:196]
	;; [unrolled: 1-line block ×4, first 2 shown]
	v_add_f64 v[0:1], v[9:10], v[13:14]
	v_add_f64 v[2:3], v[11:12], v[15:16]
	v_add_f64 v[11:12], v[11:12], -v[15:16]
	v_add_f64 v[6:7], v[210:211], v[9:10]
	ds_write_b128 v241, v[186:189]
	ds_write_b128 v241, v[193:196] offset:5184
	ds_write_b128 v241, v[201:204] offset:10368
	v_fma_f64 v[0:1], v[0:1], -0.5, v[210:211]
	v_fma_f64 v[2:3], v[2:3], -0.5, v[212:213]
	v_add_f64 v[212:213], v[4:5], v[15:16]
	v_add_f64 v[4:5], v[9:10], -v[13:14]
	v_add_f64 v[9:10], v[19:20], -v[23:24]
	v_add_f64 v[210:211], v[6:7], v[13:14]
	v_add_f64 v[6:7], v[222:223], v[17:18]
	v_fma_f64 v[214:215], v[11:12], s[6:7], v[0:1]
	v_fma_f64 v[218:219], v[11:12], s[12:13], v[0:1]
	v_add_f64 v[0:1], v[17:18], v[21:22]
	v_fma_f64 v[216:217], v[4:5], s[12:13], v[2:3]
	v_fma_f64 v[220:221], v[4:5], s[6:7], v[2:3]
	v_add_f64 v[2:3], v[19:20], v[23:24]
	v_add_f64 v[4:5], v[224:225], v[19:20]
	v_add_f64 v[11:12], v[197:198], -v[190:191]
	v_fma_f64 v[0:1], v[0:1], -0.5, v[222:223]
	v_add_f64 v[222:223], v[6:7], v[21:22]
	v_fma_f64 v[2:3], v[2:3], -0.5, v[224:225]
	v_add_f64 v[224:225], v[4:5], v[23:24]
	v_add_f64 v[4:5], v[17:18], -v[21:22]
	v_fma_f64 v[226:227], v[9:10], s[6:7], v[0:1]
	v_fma_f64 v[230:231], v[9:10], s[12:13], v[0:1]
	v_add_f64 v[0:1], v[197:198], v[190:191]
	v_add_f64 v[9:10], v[205:206], -v[238:239]
	v_fma_f64 v[228:229], v[4:5], s[12:13], v[2:3]
	v_fma_f64 v[232:233], v[4:5], s[6:7], v[2:3]
	v_add_f64 v[4:5], v[234:235], v[197:198]
	v_fma_f64 v[2:3], v[0:1], -0.5, v[234:235]
	v_add_f64 v[0:1], v[205:206], v[238:239]
	v_add_f64 v[234:235], v[4:5], v[190:191]
	v_fma_f64 v[4:5], v[9:10], s[12:13], v[2:3]
	v_fma_f64 v[6:7], v[0:1], -0.5, v[236:237]
	v_add_f64 v[0:1], v[236:237], v[205:206]
	v_add_f64 v[236:237], v[0:1], v[238:239]
	v_fma_f64 v[0:1], v[9:10], s[6:7], v[2:3]
	v_fma_f64 v[2:3], v[11:12], s[12:13], v[6:7]
	;; [unrolled: 1-line block ×3, first 2 shown]
	v_mov_b32_e32 v9, 0x3cc
	v_cndmask_b32_e32 v9, 0, v9, vcc
	v_add_lshl_u32 v8, v8, v9, 4
	buffer_store_dword v8, off, s[20:23], 0 offset:160 ; 4-byte Folded Spill
	ds_write_b128 v8, v[210:213]
	ds_write_b128 v8, v[214:217] offset:5184
	ds_write_b128 v8, v[218:221] offset:10368
	v_mad_legacy_u16 v8, v25, s0, v26
	v_lshlrev_b32_e32 v33, 4, v8
	s_movk_i32 s0, 0x3c60
	ds_write_b128 v33, v[222:225]
	ds_write_b128 v33, v[226:229] offset:5184
	ds_write_b128 v33, v[230:233] offset:10368
	;; [unrolled: 1-line block ×5, first 2 shown]
	v_add_co_u32_e32 v0, vcc, s0, v184
	v_addc_co_u32_e32 v1, vcc, 0, v185, vcc
	v_add_co_u32_e32 v2, vcc, s14, v184
	v_addc_co_u32_e32 v3, vcc, 0, v185, vcc
	s_waitcnt vmcnt(0) lgkmcnt(0)
	s_barrier
	global_load_dwordx4 v[188:191], v[2:3], off offset:3168
	global_load_dwordx4 v[184:187], v[0:1], off offset:16
	v_lshlrev_b32_e32 v0, 5, v192
	v_add_co_u32_e32 v2, vcc, s2, v0
	v_addc_co_u32_e32 v3, vcc, 0, v208, vcc
	v_add_co_u32_e32 v0, vcc, s14, v2
	v_addc_co_u32_e32 v1, vcc, 0, v3, vcc
	global_load_dwordx4 v[196:199], v[0:1], off offset:3168
	v_add_co_u32_e32 v0, vcc, s0, v2
	v_addc_co_u32_e32 v1, vcc, 0, v3, vcc
	global_load_dwordx4 v[192:195], v[0:1], off offset:16
	ds_read_b128 v[0:3], v241 offset:15552
	ds_read_b128 v[4:7], v241 offset:31104
	;; [unrolled: 1-line block ×5, first 2 shown]
	s_waitcnt vmcnt(3) lgkmcnt(4)
	v_mul_f64 v[8:9], v[2:3], v[190:191]
	v_mul_f64 v[10:11], v[0:1], v[190:191]
	s_waitcnt vmcnt(2) lgkmcnt(3)
	v_mul_f64 v[14:15], v[4:5], v[186:187]
	v_mul_f64 v[12:13], v[6:7], v[186:187]
	v_fma_f64 v[8:9], v[0:1], v[188:189], -v[8:9]
	v_fma_f64 v[10:11], v[2:3], v[188:189], v[10:11]
	ds_read_b128 v[0:3], v241 offset:34992
	s_waitcnt vmcnt(1) lgkmcnt(3)
	v_mul_f64 v[16:17], v[203:204], v[198:199]
	v_mul_f64 v[18:19], v[201:202], v[198:199]
	v_fma_f64 v[6:7], v[6:7], v[184:185], v[14:15]
	v_fma_f64 v[4:5], v[4:5], v[184:185], -v[12:13]
	v_fma_f64 v[226:227], v[201:202], v[196:197], -v[16:17]
	s_waitcnt vmcnt(0) lgkmcnt(0)
	v_mul_f64 v[16:17], v[2:3], v[194:195]
	v_fma_f64 v[14:15], v[203:204], v[196:197], v[18:19]
	v_mul_f64 v[18:19], v[0:1], v[194:195]
	v_fma_f64 v[24:25], v[0:1], v[192:193], -v[16:17]
	v_lshlrev_b32_e32 v0, 5, v200
	v_add_co_u32_e32 v12, vcc, s2, v0
	v_addc_co_u32_e32 v13, vcc, 0, v208, vcc
	v_add_co_u32_e32 v0, vcc, s14, v12
	v_addc_co_u32_e32 v1, vcc, 0, v13, vcc
	global_load_dwordx4 v[200:203], v[0:1], off offset:3168
	v_fma_f64 v[224:225], v[2:3], v[192:193], v[18:19]
	ds_read_b128 v[0:3], v241 offset:23328
	s_waitcnt vmcnt(0) lgkmcnt(0)
	v_mul_f64 v[16:17], v[2:3], v[202:203]
	v_fma_f64 v[236:237], v[0:1], v[200:201], -v[16:17]
	v_mul_f64 v[0:1], v[0:1], v[202:203]
	v_fma_f64 v[238:239], v[2:3], v[200:201], v[0:1]
	v_add_co_u32_e32 v0, vcc, s0, v12
	v_addc_co_u32_e32 v1, vcc, 0, v13, vcc
	global_load_dwordx4 v[204:207], v[0:1], off offset:16
	ds_read_b128 v[0:3], v241 offset:38880
	s_waitcnt vmcnt(0) lgkmcnt(0)
	v_mul_f64 v[16:17], v[2:3], v[206:207]
	v_fma_f64 v[242:243], v[0:1], v[204:205], -v[16:17]
	v_mul_f64 v[0:1], v[0:1], v[206:207]
	v_fma_f64 v[12:13], v[2:3], v[204:205], v[0:1]
	v_lshlrev_b32_e32 v0, 5, v209
	v_add_co_u32_e32 v18, vcc, s2, v0
	v_addc_co_u32_e32 v19, vcc, 0, v208, vcc
	v_add_co_u32_e32 v0, vcc, s14, v18
	v_addc_co_u32_e32 v1, vcc, 0, v19, vcc
	global_load_dwordx4 v[212:215], v[0:1], off offset:3168
	ds_read_b128 v[0:3], v241 offset:27216
	s_load_dwordx2 s[2:3], s[4:5], 0x38
	s_waitcnt vmcnt(0) lgkmcnt(0)
	v_mul_f64 v[16:17], v[2:3], v[214:215]
	v_fma_f64 v[28:29], v[0:1], v[212:213], -v[16:17]
	v_mul_f64 v[0:1], v[0:1], v[214:215]
	v_fma_f64 v[30:31], v[2:3], v[212:213], v[0:1]
	v_add_co_u32_e32 v0, vcc, s0, v18
	v_addc_co_u32_e32 v1, vcc, 0, v19, vcc
	global_load_dwordx4 v[208:211], v[0:1], off offset:16
	ds_read_b128 v[0:3], v241 offset:42768
	s_mov_b32 s0, 0xb000
	s_waitcnt vmcnt(0) lgkmcnt(0)
	v_mul_f64 v[16:17], v[2:3], v[210:211]
	v_fma_f64 v[26:27], v[0:1], v[208:209], -v[16:17]
	v_mul_f64 v[0:1], v[0:1], v[210:211]
	v_add_f64 v[16:17], v[8:9], v[4:5]
	v_fma_f64 v[34:35], v[2:3], v[208:209], v[0:1]
	ds_read_b128 v[0:3], v241
	s_waitcnt lgkmcnt(0)
	v_fma_f64 v[18:19], v[16:17], -0.5, v[0:1]
	v_add_f64 v[16:17], v[10:11], v[6:7]
	v_add_f64 v[0:1], v[0:1], v[8:9]
	v_fma_f64 v[218:219], v[16:17], -0.5, v[2:3]
	v_add_f64 v[2:3], v[2:3], v[10:11]
	v_add_f64 v[10:11], v[10:11], -v[6:7]
	v_add_f64 v[20:21], v[0:1], v[4:5]
	v_add_f64 v[0:1], v[8:9], -v[4:5]
	;; [unrolled: 2-line block ×3, first 2 shown]
	v_add_f64 v[22:23], v[2:3], v[6:7]
	v_add_f64 v[2:3], v[14:15], v[224:225]
	v_fma_f64 v[16:17], v[10:11], s[6:7], v[18:19]
	v_fma_f64 v[216:217], v[10:11], s[12:13], v[18:19]
	;; [unrolled: 1-line block ×4, first 2 shown]
	v_add_f64 v[0:1], v[226:227], v[24:25]
	v_add_f64 v[6:7], v[220:221], v[226:227]
	v_fma_f64 v[2:3], v[2:3], -0.5, v[222:223]
	v_add_f64 v[222:223], v[4:5], v[224:225]
	v_add_f64 v[4:5], v[226:227], -v[24:25]
	v_fma_f64 v[0:1], v[0:1], -0.5, v[220:221]
	v_add_f64 v[220:221], v[6:7], v[24:25]
	v_add_f64 v[6:7], v[232:233], v[236:237]
	v_add_f64 v[24:25], v[30:31], -v[34:35]
	v_fma_f64 v[226:227], v[4:5], s[12:13], v[2:3]
	v_fma_f64 v[230:231], v[4:5], s[6:7], v[2:3]
	v_add_f64 v[2:3], v[238:239], v[12:13]
	v_add_f64 v[4:5], v[234:235], v[238:239]
	v_fma_f64 v[224:225], v[8:9], s[6:7], v[0:1]
	v_fma_f64 v[228:229], v[8:9], s[12:13], v[0:1]
	v_add_f64 v[0:1], v[236:237], v[242:243]
	v_add_f64 v[8:9], v[238:239], -v[12:13]
	v_fma_f64 v[2:3], v[2:3], -0.5, v[234:235]
	v_add_f64 v[234:235], v[4:5], v[12:13]
	v_add_f64 v[4:5], v[236:237], -v[242:243]
	v_fma_f64 v[0:1], v[0:1], -0.5, v[232:233]
	v_add_f64 v[232:233], v[6:7], v[242:243]
	v_fma_f64 v[238:239], v[4:5], s[12:13], v[2:3]
	v_fma_f64 v[14:15], v[4:5], s[6:7], v[2:3]
	v_add_f64 v[4:5], v[28:29], v[26:27]
	v_fma_f64 v[236:237], v[8:9], s[6:7], v[0:1]
	v_fma_f64 v[12:13], v[8:9], s[12:13], v[0:1]
	ds_read_b128 v[0:3], v241 offset:11664
	s_waitcnt lgkmcnt(0)
	v_fma_f64 v[8:9], v[4:5], -0.5, v[0:1]
	v_add_f64 v[4:5], v[30:31], v[34:35]
	v_add_f64 v[0:1], v[0:1], v[28:29]
	v_fma_f64 v[10:11], v[4:5], -0.5, v[2:3]
	v_add_f64 v[2:3], v[2:3], v[30:31]
	v_add_f64 v[4:5], v[0:1], v[26:27]
	v_add_f64 v[26:27], v[28:29], -v[26:27]
	v_fma_f64 v[0:1], v[24:25], s[6:7], v[8:9]
	v_fma_f64 v[8:9], v[24:25], s[12:13], v[8:9]
	v_add_f64 v[6:7], v[2:3], v[34:35]
	v_fma_f64 v[2:3], v[26:27], s[12:13], v[10:11]
	v_fma_f64 v[10:11], v[26:27], s[6:7], v[10:11]
	ds_write_b128 v241, v[20:23]
	ds_write_b128 v241, v[16:19] offset:15552
	ds_write_b128 v241, v[216:219] offset:31104
	;; [unrolled: 1-line block ×11, first 2 shown]
	v_add_co_u32_e32 v0, vcc, s0, v244
	v_addc_co_u32_e32 v1, vcc, 0, v245, vcc
	s_waitcnt lgkmcnt(0)
	s_barrier
	global_load_dwordx4 v[0:3], v[0:1], off offset:1600
	ds_read_b128 v[4:7], v241
	ds_read_b128 v[16:19], v241 offset:19440
	s_mov_b32 s0, 0xd000
	ds_read_b128 v[10:13], v241 offset:11664
	s_waitcnt vmcnt(0) lgkmcnt(2)
	v_mul_f64 v[8:9], v[6:7], v[2:3]
	v_mul_f64 v[2:3], v[4:5], v[2:3]
	v_fma_f64 v[216:217], v[4:5], v[0:1], -v[8:9]
	v_fma_f64 v[218:219], v[6:7], v[0:1], v[2:3]
	v_add_co_u32_e32 v0, vcc, s0, v244
	v_addc_co_u32_e32 v1, vcc, 0, v245, vcc
	global_load_dwordx4 v[0:3], v[0:1], off offset:1184
	ds_read_b128 v[4:7], v241 offset:7776
	s_mov_b32 s0, 0xf000
	s_waitcnt vmcnt(0) lgkmcnt(0)
	v_mul_f64 v[8:9], v[6:7], v[2:3]
	v_mul_f64 v[2:3], v[4:5], v[2:3]
	v_fma_f64 v[220:221], v[4:5], v[0:1], -v[8:9]
	v_fma_f64 v[222:223], v[6:7], v[0:1], v[2:3]
	v_add_co_u32_e32 v0, vcc, s0, v244
	v_addc_co_u32_e32 v1, vcc, 0, v245, vcc
	global_load_dwordx4 v[0:3], v[0:1], off offset:768
	ds_read_b128 v[4:7], v241 offset:15552
	s_mov_b32 s0, 0x11000
	;; [unrolled: 10-line block ×3, first 2 shown]
	v_add_co_u32_e32 v20, vcc, s0, v244
	v_addc_co_u32_e32 v21, vcc, 0, v245, vcc
	s_mov_b32 s0, 0x14000
	s_waitcnt vmcnt(0) lgkmcnt(0)
	v_mul_f64 v[8:9], v[6:7], v[2:3]
	v_mul_f64 v[2:3], v[4:5], v[2:3]
	v_fma_f64 v[228:229], v[4:5], v[0:1], -v[8:9]
	v_fma_f64 v[230:231], v[6:7], v[0:1], v[2:3]
	global_load_dwordx4 v[0:3], v[20:21], off offset:4032
	ds_read_b128 v[4:7], v241 offset:31104
	s_waitcnt vmcnt(0) lgkmcnt(0)
	v_mul_f64 v[8:9], v[6:7], v[2:3]
	v_mul_f64 v[2:3], v[4:5], v[2:3]
	v_fma_f64 v[232:233], v[4:5], v[0:1], -v[8:9]
	v_fma_f64 v[234:235], v[6:7], v[0:1], v[2:3]
	v_add_co_u32_e32 v0, vcc, s0, v244
	v_addc_co_u32_e32 v1, vcc, 0, v245, vcc
	global_load_dwordx4 v[0:3], v[0:1], off offset:3616
	ds_read_b128 v[4:7], v241 offset:38880
	s_mov_b32 s0, 0xb640
	s_waitcnt vmcnt(0) lgkmcnt(0)
	v_mul_f64 v[8:9], v[6:7], v[2:3]
	v_mul_f64 v[2:3], v[4:5], v[2:3]
	v_fma_f64 v[236:237], v[4:5], v[0:1], -v[8:9]
	v_fma_f64 v[238:239], v[6:7], v[0:1], v[2:3]
	v_add_co_u32_e32 v0, vcc, s0, v244
	v_addc_co_u32_e32 v1, vcc, 0, v245, vcc
	global_load_dwordx4 v[0:3], v[0:1], off offset:3888
	ds_read_b128 v[4:7], v241 offset:3888
	s_mov_b32 s0, 0xe000
	s_waitcnt vmcnt(0) lgkmcnt(0)
	v_mul_f64 v[8:9], v[6:7], v[2:3]
	v_mul_f64 v[2:3], v[4:5], v[2:3]
	v_fma_f64 v[22:23], v[4:5], v[0:1], -v[8:9]
	v_fma_f64 v[24:25], v[6:7], v[0:1], v[2:3]
	v_add_co_u32_e32 v0, vcc, s0, v244
	v_addc_co_u32_e32 v1, vcc, 0, v245, vcc
	global_load_dwordx4 v[6:9], v[0:1], off offset:976
	s_mov_b32 s0, 0x10000
	s_waitcnt vmcnt(0)
	v_mul_f64 v[0:1], v[12:13], v[8:9]
	v_mul_f64 v[2:3], v[10:11], v[8:9]
	v_fma_f64 v[8:9], v[10:11], v[6:7], -v[0:1]
	v_add_co_u32_e32 v0, vcc, s0, v244
	v_addc_co_u32_e32 v1, vcc, 0, v245, vcc
	v_fma_f64 v[10:11], v[12:13], v[6:7], v[2:3]
	global_load_dwordx4 v[12:15], v[0:1], off offset:560
	s_mov_b32 s0, 0x13000
	s_waitcnt vmcnt(0)
	v_mul_f64 v[0:1], v[18:19], v[14:15]
	v_mul_f64 v[2:3], v[16:17], v[14:15]
	v_fma_f64 v[14:15], v[16:17], v[12:13], -v[0:1]
	v_fma_f64 v[16:17], v[18:19], v[12:13], v[2:3]
	global_load_dwordx4 v[18:21], v[20:21], off offset:144
	ds_read_b128 v[0:3], v241 offset:27216
	s_waitcnt vmcnt(0) lgkmcnt(0)
	v_mul_f64 v[4:5], v[2:3], v[20:21]
	v_mul_f64 v[6:7], v[0:1], v[20:21]
	v_fma_f64 v[0:1], v[0:1], v[18:19], -v[4:5]
	v_add_co_u32_e32 v4, vcc, s0, v244
	v_addc_co_u32_e32 v5, vcc, 0, v245, vcc
	v_fma_f64 v[2:3], v[2:3], v[18:19], v[6:7]
	global_load_dwordx4 v[4:7], v[4:5], off offset:3824
	ds_read_b128 v[18:21], v241 offset:34992
	s_mov_b32 s0, 0x15000
	s_waitcnt vmcnt(0) lgkmcnt(0)
	v_mul_f64 v[12:13], v[20:21], v[6:7]
	v_mul_f64 v[6:7], v[18:19], v[6:7]
	v_fma_f64 v[18:19], v[18:19], v[4:5], -v[12:13]
	v_fma_f64 v[20:21], v[20:21], v[4:5], v[6:7]
	v_add_co_u32_e32 v4, vcc, s0, v244
	v_addc_co_u32_e32 v5, vcc, 0, v245, vcc
	global_load_dwordx4 v[4:7], v[4:5], off offset:3408
	ds_read_b128 v[242:245], v241 offset:42768
	s_waitcnt vmcnt(0) lgkmcnt(0)
	v_mul_f64 v[12:13], v[244:245], v[6:7]
	v_mul_f64 v[6:7], v[242:243], v[6:7]
	v_fma_f64 v[242:243], v[242:243], v[4:5], -v[12:13]
	v_fma_f64 v[244:245], v[244:245], v[4:5], v[6:7]
	ds_write_b128 v241, v[216:219]
	ds_write_b128 v241, v[220:223] offset:7776
	ds_write_b128 v241, v[224:227] offset:15552
	;; [unrolled: 1-line block ×11, first 2 shown]
	s_waitcnt lgkmcnt(0)
	s_barrier
	ds_read_b128 v[0:3], v241
	ds_read_b128 v[4:7], v241 offset:15552
	ds_read_b128 v[8:11], v241 offset:31104
	s_waitcnt lgkmcnt(1)
	v_add_f64 v[12:13], v[0:1], v[4:5]
	v_add_f64 v[14:15], v[2:3], v[6:7]
	s_waitcnt lgkmcnt(0)
	v_add_f64 v[16:17], v[4:5], v[8:9]
	v_add_f64 v[18:19], v[6:7], -v[10:11]
	v_add_f64 v[20:21], v[6:7], v[10:11]
	v_add_f64 v[22:23], v[4:5], -v[8:9]
	v_add_f64 v[24:25], v[12:13], v[8:9]
	v_add_f64 v[26:27], v[14:15], v[10:11]
	ds_read_b128 v[4:7], v241 offset:7776
	ds_read_b128 v[8:11], v241 offset:23328
	;; [unrolled: 1-line block ×3, first 2 shown]
	v_fma_f64 v[16:17], v[16:17], -0.5, v[0:1]
	v_fma_f64 v[20:21], v[20:21], -0.5, v[2:3]
	s_waitcnt lgkmcnt(1)
	v_add_f64 v[28:29], v[4:5], v[8:9]
	s_waitcnt lgkmcnt(0)
	v_add_f64 v[34:35], v[10:11], v[14:15]
	v_add_f64 v[30:31], v[6:7], v[10:11]
	;; [unrolled: 1-line block ×3, first 2 shown]
	v_add_f64 v[220:221], v[8:9], -v[12:13]
	v_add_f64 v[218:219], v[10:11], -v[14:15]
	v_add_f64 v[8:9], v[28:29], v[12:13]
	v_fma_f64 v[28:29], v[34:35], -0.5, v[6:7]
	v_add_f64 v[10:11], v[30:31], v[14:15]
	v_fma_f64 v[30:31], v[216:217], -0.5, v[4:5]
	v_add_f64 v[0:1], v[24:25], v[8:9]
	v_add_f64 v[4:5], v[24:25], -v[8:9]
	v_fma_f64 v[8:9], v[220:221], s[6:7], v[28:29]
	v_add_f64 v[2:3], v[26:27], v[10:11]
	v_add_f64 v[6:7], v[26:27], -v[10:11]
	v_fma_f64 v[12:13], v[218:219], s[12:13], v[30:31]
	v_fma_f64 v[26:27], v[22:23], s[6:7], v[20:21]
	;; [unrolled: 1-line block ×3, first 2 shown]
	v_mul_f64 v[10:11], v[8:9], s[12:13]
	v_mul_f64 v[8:9], v[8:9], 0.5
	v_fma_f64 v[14:15], v[12:13], 0.5, v[10:11]
	v_fma_f64 v[24:25], v[12:13], s[6:7], v[8:9]
	v_fma_f64 v[12:13], v[18:19], s[12:13], v[16:17]
	v_add_f64 v[10:11], v[26:27], v[24:25]
	v_add_f64 v[8:9], v[12:13], v[14:15]
	v_add_f64 v[12:13], v[12:13], -v[14:15]
	v_add_f64 v[14:15], v[26:27], -v[24:25]
	v_fma_f64 v[24:25], v[220:221], s[12:13], v[28:29]
	v_fma_f64 v[26:27], v[18:19], s[6:7], v[16:17]
	;; [unrolled: 1-line block ×3, first 2 shown]
	ds_read_b128 v[216:219], v241 offset:3888
	ds_read_b128 v[220:223], v241 offset:11664
	;; [unrolled: 1-line block ×6, first 2 shown]
	s_waitcnt lgkmcnt(0)
	s_barrier
	v_mul_f64 v[18:19], v[24:25], s[12:13]
	v_mul_f64 v[20:21], v[24:25], -0.5
	v_fma_f64 v[24:25], v[16:17], -0.5, v[18:19]
	v_fma_f64 v[28:29], v[16:17], s[6:7], v[20:21]
	v_add_f64 v[16:17], v[26:27], v[24:25]
	v_add_f64 v[18:19], v[22:23], v[28:29]
	v_add_f64 v[20:21], v[26:27], -v[24:25]
	v_add_f64 v[22:23], v[22:23], -v[28:29]
	ds_write_b128 v247, v[0:3]
	ds_write_b128 v247, v[8:11] offset:16
	ds_write_b128 v247, v[16:19] offset:32
	;; [unrolled: 1-line block ×5, first 2 shown]
	v_add_f64 v[0:1], v[216:217], v[224:225]
	v_add_f64 v[2:3], v[218:219], v[226:227]
	;; [unrolled: 1-line block ×5, first 2 shown]
	v_add_f64 v[22:23], v[228:229], -v[236:237]
	v_add_f64 v[6:7], v[226:227], v[234:235]
	v_add_f64 v[20:21], v[230:231], -v[238:239]
	v_add_f64 v[8:9], v[0:1], v[232:233]
	v_add_f64 v[0:1], v[220:221], v[228:229]
	;; [unrolled: 1-line block ×4, first 2 shown]
	v_fma_f64 v[34:35], v[12:13], -0.5, v[222:223]
	v_fma_f64 v[28:29], v[4:5], -0.5, v[216:217]
	;; [unrolled: 1-line block ×3, first 2 shown]
	v_add_f64 v[16:17], v[226:227], -v[234:235]
	v_add_f64 v[18:19], v[224:225], -v[232:233]
	v_add_f64 v[24:25], v[0:1], v[236:237]
	v_fma_f64 v[30:31], v[6:7], -0.5, v[218:219]
	v_add_f64 v[26:27], v[2:3], v[238:239]
	v_fma_f64 v[12:13], v[20:21], s[12:13], v[216:217]
	v_add_f64 v[0:1], v[8:9], v[24:25]
	v_add_f64 v[4:5], v[8:9], -v[24:25]
	v_fma_f64 v[8:9], v[22:23], s[6:7], v[34:35]
	v_add_f64 v[2:3], v[10:11], v[26:27]
	v_add_f64 v[6:7], v[10:11], -v[26:27]
	v_fma_f64 v[26:27], v[18:19], s[6:7], v[30:31]
	v_fma_f64 v[22:23], v[22:23], s[12:13], v[34:35]
	v_mul_f64 v[10:11], v[8:9], s[12:13]
	v_mul_f64 v[8:9], v[8:9], 0.5
	v_fma_f64 v[14:15], v[12:13], 0.5, v[10:11]
	v_fma_f64 v[24:25], v[12:13], s[6:7], v[8:9]
	v_fma_f64 v[12:13], v[16:17], s[12:13], v[28:29]
	v_add_f64 v[10:11], v[26:27], v[24:25]
	v_add_f64 v[8:9], v[12:13], v[14:15]
	v_add_f64 v[12:13], v[12:13], -v[14:15]
	v_add_f64 v[14:15], v[26:27], -v[24:25]
	v_fma_f64 v[24:25], v[16:17], s[6:7], v[28:29]
	v_fma_f64 v[26:27], v[18:19], s[12:13], v[30:31]
	;; [unrolled: 1-line block ×3, first 2 shown]
	v_mul_f64 v[18:19], v[22:23], s[12:13]
	v_mul_f64 v[20:21], v[22:23], -0.5
	v_fma_f64 v[22:23], v[16:17], -0.5, v[18:19]
	v_fma_f64 v[28:29], v[16:17], s[6:7], v[20:21]
	v_add_f64 v[16:17], v[24:25], v[22:23]
	v_add_f64 v[18:19], v[26:27], v[28:29]
	v_add_f64 v[20:21], v[24:25], -v[22:23]
	v_add_f64 v[22:23], v[26:27], -v[28:29]
	ds_write_b128 v246, v[0:3]
	ds_write_b128 v246, v[8:11] offset:16
	ds_write_b128 v246, v[16:19] offset:32
	ds_write_b128 v246, v[4:7] offset:48
	ds_write_b128 v246, v[12:15] offset:64
	ds_write_b128 v246, v[20:23] offset:80
	s_waitcnt lgkmcnt(0)
	s_barrier
	ds_read_b128 v[0:3], v241 offset:7776
	s_waitcnt lgkmcnt(0)
	v_mul_f64 v[4:5], v[62:63], v[2:3]
	v_mul_f64 v[6:7], v[62:63], v[0:1]
	v_fma_f64 v[4:5], v[60:61], v[0:1], v[4:5]
	v_fma_f64 v[6:7], v[60:61], v[2:3], -v[6:7]
	ds_read_b128 v[0:3], v241 offset:15552
	s_waitcnt lgkmcnt(0)
	v_mul_f64 v[8:9], v[58:59], v[2:3]
	v_mul_f64 v[10:11], v[58:59], v[0:1]
	v_fma_f64 v[8:9], v[56:57], v[0:1], v[8:9]
	v_fma_f64 v[10:11], v[56:57], v[2:3], -v[10:11]
	;; [unrolled: 6-line block ×4, first 2 shown]
	ds_read_b128 v[0:3], v241 offset:38880
	s_waitcnt lgkmcnt(0)
	v_mul_f64 v[20:21], v[66:67], v[2:3]
	v_mul_f64 v[22:23], v[66:67], v[0:1]
	v_add_f64 v[52:53], v[8:9], v[16:17]
	v_fma_f64 v[20:21], v[64:65], v[0:1], v[20:21]
	v_fma_f64 v[22:23], v[64:65], v[2:3], -v[22:23]
	ds_read_b128 v[0:3], v241 offset:11664
	s_waitcnt lgkmcnt(0)
	v_mul_f64 v[24:25], v[82:83], v[2:3]
	v_mul_f64 v[26:27], v[82:83], v[0:1]
	v_fma_f64 v[24:25], v[80:81], v[0:1], v[24:25]
	v_fma_f64 v[26:27], v[80:81], v[2:3], -v[26:27]
	ds_read_b128 v[0:3], v241 offset:19440
	s_waitcnt lgkmcnt(0)
	v_mul_f64 v[28:29], v[78:79], v[2:3]
	v_mul_f64 v[30:31], v[78:79], v[0:1]
	;; [unrolled: 6-line block ×5, first 2 shown]
	v_add_f64 v[68:69], v[28:29], v[60:61]
	v_fma_f64 v[64:65], v[84:85], v[0:1], v[48:49]
	v_fma_f64 v[66:67], v[84:85], v[2:3], -v[50:51]
	ds_read_b128 v[0:3], v241
	v_add_f64 v[48:49], v[10:11], v[18:19]
	s_waitcnt lgkmcnt(0)
	v_fma_f64 v[50:51], v[52:53], -0.5, v[0:1]
	v_add_f64 v[52:53], v[10:11], -v[18:19]
	v_add_f64 v[10:11], v[2:3], v[10:11]
	v_add_f64 v[0:1], v[0:1], v[8:9]
	v_fma_f64 v[2:3], v[48:49], -0.5, v[2:3]
	v_fma_f64 v[48:49], v[52:53], s[12:13], v[50:51]
	v_fma_f64 v[50:51], v[52:53], s[6:7], v[50:51]
	v_add_f64 v[52:53], v[12:13], v[20:21]
	v_add_f64 v[10:11], v[10:11], v[18:19]
	;; [unrolled: 1-line block ×3, first 2 shown]
	v_fma_f64 v[52:53], v[52:53], -0.5, v[4:5]
	v_add_f64 v[4:5], v[4:5], v[12:13]
	v_fma_f64 v[18:19], v[18:19], -0.5, v[6:7]
	v_add_f64 v[12:13], v[12:13], -v[20:21]
	v_add_f64 v[6:7], v[6:7], v[14:15]
	v_add_f64 v[14:15], v[14:15], -v[22:23]
	v_add_f64 v[4:5], v[4:5], v[20:21]
	v_fma_f64 v[54:55], v[12:13], s[6:7], v[18:19]
	v_fma_f64 v[12:13], v[12:13], s[12:13], v[18:19]
	v_add_f64 v[18:19], v[0:1], v[16:17]
	v_add_f64 v[0:1], v[8:9], -v[16:17]
	v_fma_f64 v[8:9], v[14:15], s[12:13], v[52:53]
	v_fma_f64 v[14:15], v[14:15], s[6:7], v[52:53]
	v_add_f64 v[6:7], v[6:7], v[22:23]
	v_mul_f64 v[16:17], v[54:55], s[12:13]
	v_mul_f64 v[20:21], v[54:55], 0.5
	v_mul_f64 v[52:53], v[12:13], s[12:13]
	v_mul_f64 v[12:13], v[12:13], -0.5
	v_fma_f64 v[22:23], v[0:1], s[6:7], v[2:3]
	v_fma_f64 v[54:55], v[0:1], s[12:13], v[2:3]
	v_add_f64 v[2:3], v[10:11], v[6:7]
	v_add_f64 v[6:7], v[10:11], -v[6:7]
	v_fma_f64 v[16:17], v[8:9], 0.5, v[16:17]
	v_fma_f64 v[20:21], v[8:9], s[6:7], v[20:21]
	v_fma_f64 v[52:53], v[14:15], -0.5, v[52:53]
	v_fma_f64 v[56:57], v[14:15], s[6:7], v[12:13]
	v_add_f64 v[0:1], v[18:19], v[4:5]
	v_add_f64 v[4:5], v[18:19], -v[4:5]
	v_add_f64 v[8:9], v[48:49], v[16:17]
	v_add_f64 v[10:11], v[22:23], v[20:21]
	v_add_f64 v[12:13], v[48:49], -v[16:17]
	v_add_f64 v[14:15], v[22:23], -v[20:21]
	v_add_f64 v[16:17], v[50:51], v[52:53]
	v_add_f64 v[20:21], v[50:51], -v[52:53]
	v_add_f64 v[52:53], v[30:31], v[62:63]
	ds_read_b128 v[48:51], v241 offset:3888
	v_add_f64 v[18:19], v[54:55], v[56:57]
	v_add_f64 v[22:23], v[54:55], -v[56:57]
	buffer_load_dword v80, off, s[20:23], 0 offset:128 ; 4-byte Folded Reload
	buffer_load_dword v81, off, s[20:23], 0 offset:132 ; 4-byte Folded Reload
	s_waitcnt lgkmcnt(0)
	v_fma_f64 v[68:69], v[68:69], -0.5, v[48:49]
	v_add_f64 v[48:49], v[48:49], v[28:29]
	v_fma_f64 v[70:71], v[52:53], -0.5, v[50:51]
	v_add_f64 v[50:51], v[50:51], v[30:31]
	v_add_f64 v[30:31], v[30:31], -v[62:63]
	v_add_f64 v[28:29], v[28:29], -v[60:61]
	s_waitcnt vmcnt(0)
	s_barrier
	v_add_f64 v[48:49], v[48:49], v[60:61]
	v_add_f64 v[56:57], v[50:51], v[62:63]
	v_add_f64 v[50:51], v[24:25], v[34:35]
	v_add_f64 v[54:55], v[50:51], v[64:65]
	v_add_f64 v[50:51], v[26:27], v[58:59]
	v_add_f64 v[72:73], v[50:51], v[66:67]
	v_add_f64 v[50:51], v[48:49], v[54:55]
	v_add_f64 v[54:55], v[48:49], -v[54:55]
	v_add_f64 v[48:49], v[58:59], v[66:67]
	v_add_f64 v[52:53], v[56:57], v[72:73]
	v_add_f64 v[56:57], v[56:57], -v[72:73]
	v_fma_f64 v[72:73], v[28:29], s[6:7], v[70:71]
	v_fma_f64 v[26:27], v[48:49], -0.5, v[26:27]
	v_add_f64 v[48:49], v[34:35], v[64:65]
	v_add_f64 v[34:35], v[34:35], -v[64:65]
	v_fma_f64 v[28:29], v[28:29], s[12:13], v[70:71]
	v_fma_f64 v[24:25], v[48:49], -0.5, v[24:25]
	v_add_f64 v[48:49], v[58:59], -v[66:67]
	v_fma_f64 v[58:59], v[34:35], s[6:7], v[26:27]
	v_fma_f64 v[26:27], v[34:35], s[12:13], v[26:27]
	;; [unrolled: 1-line block ×3, first 2 shown]
	v_mul_f64 v[60:61], v[58:59], s[12:13]
	v_mul_f64 v[58:59], v[58:59], 0.5
	v_fma_f64 v[24:25], v[48:49], s[6:7], v[24:25]
	v_mul_f64 v[34:35], v[26:27], s[12:13]
	v_mul_f64 v[26:27], v[26:27], -0.5
	v_fma_f64 v[64:65], v[62:63], 0.5, v[60:61]
	v_fma_f64 v[66:67], v[62:63], s[6:7], v[58:59]
	v_fma_f64 v[62:63], v[30:31], s[12:13], v[68:69]
	;; [unrolled: 1-line block ×3, first 2 shown]
	v_fma_f64 v[34:35], v[24:25], -0.5, v[34:35]
	v_fma_f64 v[24:25], v[24:25], s[6:7], v[26:27]
	v_add_f64 v[60:61], v[72:73], v[66:67]
	v_add_f64 v[58:59], v[62:63], v[64:65]
	v_add_f64 v[62:63], v[62:63], -v[64:65]
	v_add_f64 v[64:65], v[72:73], -v[66:67]
	v_add_f64 v[66:67], v[30:31], v[34:35]
	v_add_f64 v[68:69], v[28:29], v[24:25]
	v_add_f64 v[70:71], v[30:31], -v[34:35]
	v_add_f64 v[72:73], v[28:29], -v[24:25]
	ds_write_b128 v248, v[0:3]
	ds_write_b128 v248, v[8:11] offset:96
	ds_write_b128 v248, v[16:19] offset:192
	;; [unrolled: 1-line block ×5, first 2 shown]
	ds_write_b128 v249, v[50:53]
	ds_write_b128 v249, v[58:61] offset:96
	ds_write_b128 v249, v[66:69] offset:192
	;; [unrolled: 1-line block ×5, first 2 shown]
	s_waitcnt lgkmcnt(0)
	s_barrier
	ds_read_b128 v[0:3], v241 offset:15552
	ds_read_b128 v[4:7], v241
	ds_read_b128 v[8:11], v241 offset:31104
	ds_read_b128 v[12:15], v241 offset:3888
	;; [unrolled: 1-line block ×3, first 2 shown]
	s_waitcnt lgkmcnt(4)
	v_mul_f64 v[24:25], v[94:95], v[2:3]
	ds_read_b128 v[20:23], v241 offset:34992
	v_mul_f64 v[26:27], v[94:95], v[0:1]
	ds_read_b128 v[50:53], v241 offset:7776
	ds_read_b128 v[54:57], v241 offset:23328
	ds_read_b128 v[58:61], v241 offset:38880
	s_waitcnt lgkmcnt(4)
	v_mul_f64 v[34:35], v[106:107], v[18:19]
	v_mul_f64 v[66:67], v[106:107], v[16:17]
	;; [unrolled: 1-line block ×3, first 2 shown]
	s_waitcnt lgkmcnt(3)
	v_mul_f64 v[68:69], v[98:99], v[22:23]
	v_mul_f64 v[28:29], v[90:91], v[10:11]
	v_fma_f64 v[24:25], v[92:93], v[0:1], v[24:25]
	v_fma_f64 v[26:27], v[92:93], v[2:3], -v[26:27]
	ds_read_b128 v[0:3], v241 offset:11664
	ds_read_b128 v[62:65], v241 offset:27216
	v_fma_f64 v[34:35], v[104:105], v[16:17], v[34:35]
	v_mul_f64 v[16:17], v[98:99], v[20:21]
	v_fma_f64 v[66:67], v[104:105], v[18:19], -v[66:67]
	s_waitcnt lgkmcnt(3)
	v_mul_f64 v[18:19], v[114:115], v[56:57]
	v_fma_f64 v[30:31], v[88:89], v[10:11], -v[30:31]
	v_fma_f64 v[20:21], v[96:97], v[20:21], v[68:69]
	s_waitcnt lgkmcnt(2)
	v_mul_f64 v[68:69], v[102:103], v[58:59]
	v_fma_f64 v[28:29], v[88:89], v[8:9], v[28:29]
	ds_read_b128 v[8:11], v241 offset:42768
	v_fma_f64 v[22:23], v[96:97], v[22:23], -v[16:17]
	s_waitcnt lgkmcnt(1)
	v_mul_f64 v[16:17], v[118:119], v[64:65]
	v_fma_f64 v[74:75], v[112:113], v[54:55], v[18:19]
	v_mul_f64 v[18:19], v[118:119], v[62:63]
	v_mul_f64 v[70:71], v[114:115], v[54:55]
	;; [unrolled: 1-line block ×3, first 2 shown]
	v_fma_f64 v[60:61], v[100:101], v[60:61], -v[68:69]
	v_add_f64 v[54:55], v[24:25], v[28:29]
	s_waitcnt lgkmcnt(0)
	v_fma_f64 v[68:69], v[116:117], v[62:63], v[16:17]
	v_mul_f64 v[16:17], v[110:111], v[8:9]
	v_fma_f64 v[64:65], v[116:117], v[64:65], -v[18:19]
	v_add_f64 v[18:19], v[26:27], v[30:31]
	v_fma_f64 v[70:71], v[112:113], v[56:57], -v[70:71]
	v_fma_f64 v[72:73], v[100:101], v[58:59], v[72:73]
	v_mul_f64 v[56:57], v[110:111], v[10:11]
	v_add_f64 v[58:59], v[4:5], v[24:25]
	v_add_f64 v[62:63], v[26:27], -v[30:31]
	v_add_f64 v[26:27], v[6:7], v[26:27]
	v_fma_f64 v[78:79], v[108:109], v[10:11], -v[16:17]
	v_add_f64 v[10:11], v[34:35], v[20:21]
	v_fma_f64 v[18:19], v[18:19], -0.5, v[6:7]
	v_add_f64 v[24:25], v[24:25], -v[28:29]
	v_fma_f64 v[54:55], v[54:55], -0.5, v[4:5]
	v_fma_f64 v[76:77], v[108:109], v[8:9], v[56:57]
	v_add_f64 v[4:5], v[58:59], v[28:29]
	v_add_f64 v[6:7], v[26:27], v[30:31]
	;; [unrolled: 1-line block ×3, first 2 shown]
	v_fma_f64 v[30:31], v[10:11], -0.5, v[12:13]
	v_add_f64 v[28:29], v[12:13], v[34:35]
	v_fma_f64 v[10:11], v[24:25], s[6:7], v[18:19]
	v_fma_f64 v[18:19], v[24:25], s[12:13], v[18:19]
	v_add_f64 v[24:25], v[14:15], v[66:67]
	v_fma_f64 v[8:9], v[62:63], s[12:13], v[54:55]
	v_fma_f64 v[16:17], v[62:63], s[6:7], v[54:55]
	v_add_f64 v[54:55], v[66:67], -v[22:23]
	v_add_f64 v[56:57], v[74:75], v[72:73]
	v_fma_f64 v[26:27], v[26:27], -0.5, v[14:15]
	v_add_f64 v[34:35], v[34:35], -v[20:21]
	v_add_f64 v[12:13], v[28:29], v[20:21]
	v_add_f64 v[14:15], v[24:25], v[22:23]
	;; [unrolled: 1-line block ×4, first 2 shown]
	v_fma_f64 v[20:21], v[54:55], s[12:13], v[30:31]
	v_fma_f64 v[62:63], v[56:57], -0.5, v[50:51]
	v_fma_f64 v[54:55], v[54:55], s[6:7], v[30:31]
	v_fma_f64 v[22:23], v[34:35], s[6:7], v[26:27]
	;; [unrolled: 1-line block ×3, first 2 shown]
	v_add_f64 v[30:31], v[52:53], v[70:71]
	v_fma_f64 v[24:25], v[24:25], -0.5, v[52:53]
	v_add_f64 v[34:35], v[74:75], -v[72:73]
	v_add_f64 v[66:67], v[70:71], -v[60:61]
	v_add_f64 v[50:51], v[28:29], v[72:73]
	v_add_f64 v[28:29], v[64:65], v[78:79]
	v_add_f64 v[70:71], v[64:65], -v[78:79]
	v_add_f64 v[72:73], v[2:3], v[64:65]
	v_add_f64 v[52:53], v[30:31], v[60:61]
	s_barrier
	v_fma_f64 v[60:61], v[34:35], s[6:7], v[24:25]
	v_fma_f64 v[64:65], v[34:35], s[12:13], v[24:25]
	buffer_load_dword v24, off, s[20:23], 0 offset:136 ; 4-byte Folded Reload
	s_waitcnt vmcnt(0)
	ds_write_b128 v24, v[4:7]
	ds_write_b128 v24, v[8:11] offset:576
	ds_write_b128 v24, v[16:19] offset:1152
	buffer_load_dword v4, off, s[20:23], 0 offset:140 ; 4-byte Folded Reload
	s_waitcnt vmcnt(0)
	ds_write_b128 v4, v[12:15]
	ds_write_b128 v4, v[20:23] offset:576
	ds_write_b128 v4, v[54:57] offset:1152
	buffer_load_dword v4, off, s[20:23], 0 offset:144 ; 4-byte Folded Reload
	v_fma_f64 v[58:59], v[66:67], s[12:13], v[62:63]
	v_fma_f64 v[62:63], v[66:67], s[6:7], v[62:63]
	s_waitcnt vmcnt(0)
	ds_write_b128 v4, v[50:53]
	ds_write_b128 v4, v[58:61] offset:576
	ds_write_b128 v4, v[62:65] offset:1152
	buffer_load_dword v4, off, s[20:23], 0 offset:148 ; 4-byte Folded Reload
	v_add_f64 v[26:27], v[68:69], v[76:77]
	v_add_f64 v[66:67], v[0:1], v[68:69]
	v_fma_f64 v[28:29], v[28:29], -0.5, v[2:3]
	v_add_f64 v[74:75], v[68:69], -v[76:77]
	v_add_f64 v[2:3], v[72:73], v[78:79]
	v_mad_u64_u32 v[48:49], s[0:1], s10, v80, 0
	v_fma_f64 v[26:27], v[26:27], -0.5, v[0:1]
	v_add_f64 v[0:1], v[66:67], v[76:77]
	v_fma_f64 v[68:69], v[74:75], s[6:7], v[28:29]
	v_fma_f64 v[72:73], v[74:75], s[12:13], v[28:29]
	;; [unrolled: 1-line block ×4, first 2 shown]
	s_waitcnt vmcnt(0)
	ds_write_b128 v4, v[0:3]
	ds_write_b128 v4, v[66:69] offset:576
	ds_write_b128 v4, v[70:73] offset:1152
	s_waitcnt lgkmcnt(0)
	s_barrier
	ds_read_b128 v[0:3], v241
	ds_read_b128 v[4:7], v241 offset:15552
	ds_read_b128 v[8:11], v241 offset:31104
	;; [unrolled: 1-line block ×8, first 2 shown]
	s_waitcnt lgkmcnt(7)
	v_mul_f64 v[24:25], v[126:127], v[6:7]
	v_mul_f64 v[26:27], v[126:127], v[4:5]
	s_waitcnt lgkmcnt(6)
	v_mul_f64 v[28:29], v[122:123], v[10:11]
	v_mul_f64 v[30:31], v[122:123], v[8:9]
	s_waitcnt lgkmcnt(4)
	v_mul_f64 v[34:35], v[138:139], v[18:19]
	ds_read_b128 v[62:65], v241 offset:11664
	ds_read_b128 v[70:73], v241 offset:42768
	;; [unrolled: 1-line block ×3, first 2 shown]
	v_fma_f64 v[4:5], v[124:125], v[4:5], v[24:25]
	v_mul_f64 v[24:25], v[138:139], v[16:17]
	v_fma_f64 v[6:7], v[124:125], v[6:7], -v[26:27]
	v_fma_f64 v[8:9], v[120:121], v[8:9], v[28:29]
	s_waitcnt lgkmcnt(6)
	v_mul_f64 v[26:27], v[130:131], v[22:23]
	v_fma_f64 v[10:11], v[120:121], v[10:11], -v[30:31]
	v_mul_f64 v[28:29], v[130:131], v[20:21]
	v_fma_f64 v[16:17], v[136:137], v[16:17], v[34:35]
	s_waitcnt lgkmcnt(4)
	v_mul_f64 v[30:31], v[146:147], v[56:57]
	v_mul_f64 v[34:35], v[146:147], v[54:55]
	v_fma_f64 v[18:19], v[136:137], v[18:19], -v[24:25]
	s_waitcnt lgkmcnt(3)
	v_mul_f64 v[24:25], v[134:135], v[60:61]
	v_fma_f64 v[20:21], v[128:129], v[20:21], v[26:27]
	v_mul_f64 v[26:27], v[134:135], v[58:59]
	v_fma_f64 v[22:23], v[128:129], v[22:23], -v[28:29]
	s_waitcnt lgkmcnt(0)
	v_mul_f64 v[28:29], v[150:151], v[68:69]
	v_fma_f64 v[30:31], v[144:145], v[54:55], v[30:31]
	v_fma_f64 v[34:35], v[144:145], v[56:57], -v[34:35]
	v_mul_f64 v[54:55], v[150:151], v[66:67]
	v_fma_f64 v[24:25], v[132:133], v[58:59], v[24:25]
	v_add_f64 v[56:57], v[4:5], v[8:9]
	v_mul_f64 v[58:59], v[142:143], v[72:73]
	v_fma_f64 v[26:27], v[132:133], v[60:61], -v[26:27]
	v_fma_f64 v[28:29], v[148:149], v[66:67], v[28:29]
	v_mul_f64 v[60:61], v[142:143], v[70:71]
	v_add_f64 v[66:67], v[0:1], v[4:5]
	v_fma_f64 v[68:69], v[148:149], v[68:69], -v[54:55]
	v_add_f64 v[54:55], v[6:7], v[10:11]
	v_fma_f64 v[56:57], v[56:57], -0.5, v[0:1]
	v_add_f64 v[74:75], v[6:7], -v[10:11]
	v_fma_f64 v[70:71], v[140:141], v[70:71], v[58:59]
	v_add_f64 v[58:59], v[16:17], v[20:21]
	v_add_f64 v[6:7], v[2:3], v[6:7]
	v_fma_f64 v[72:73], v[140:141], v[72:73], -v[60:61]
	v_add_f64 v[0:1], v[66:67], v[8:9]
	v_fma_f64 v[54:55], v[54:55], -0.5, v[2:3]
	v_add_f64 v[60:61], v[4:5], -v[8:9]
	v_fma_f64 v[4:5], v[74:75], s[12:13], v[56:57]
	v_fma_f64 v[8:9], v[74:75], s[6:7], v[56:57]
	v_add_f64 v[56:57], v[18:19], v[22:23]
	v_add_f64 v[66:67], v[12:13], v[16:17]
	v_fma_f64 v[58:59], v[58:59], -0.5, v[12:13]
	v_add_f64 v[74:75], v[18:19], -v[22:23]
	v_add_f64 v[76:77], v[30:31], v[24:25]
	v_add_f64 v[2:3], v[6:7], v[10:11]
	v_fma_f64 v[6:7], v[60:61], s[6:7], v[54:55]
	v_fma_f64 v[10:11], v[60:61], s[12:13], v[54:55]
	v_add_f64 v[18:19], v[14:15], v[18:19]
	v_fma_f64 v[54:55], v[56:57], -0.5, v[14:15]
	v_add_f64 v[56:57], v[16:17], -v[20:21]
	v_add_f64 v[12:13], v[66:67], v[20:21]
	v_fma_f64 v[16:17], v[74:75], s[12:13], v[58:59]
	v_add_f64 v[60:61], v[50:51], v[30:31]
	v_fma_f64 v[66:67], v[76:77], -0.5, v[50:51]
	v_add_f64 v[76:77], v[34:35], -v[26:27]
	v_fma_f64 v[20:21], v[74:75], s[6:7], v[58:59]
	v_add_f64 v[74:75], v[34:35], v[26:27]
	v_add_f64 v[14:15], v[18:19], v[22:23]
	v_fma_f64 v[18:19], v[56:57], s[6:7], v[54:55]
	v_fma_f64 v[22:23], v[56:57], s[12:13], v[54:55]
	v_add_f64 v[50:51], v[60:61], v[24:25]
	v_add_f64 v[56:57], v[28:29], v[70:71]
	v_fma_f64 v[54:55], v[76:77], s[12:13], v[66:67]
	v_fma_f64 v[58:59], v[76:77], s[6:7], v[66:67]
	v_add_f64 v[60:61], v[68:69], v[72:73]
	v_fma_f64 v[66:67], v[74:75], -0.5, v[52:53]
	v_add_f64 v[24:25], v[30:31], -v[24:25]
	s_barrier
	v_fma_f64 v[74:75], v[56:57], -0.5, v[62:63]
	v_add_f64 v[34:35], v[52:53], v[34:35]
	v_fma_f64 v[78:79], v[60:61], -0.5, v[64:65]
	v_add_f64 v[30:31], v[62:63], v[28:29]
	v_fma_f64 v[56:57], v[24:25], s[6:7], v[66:67]
	v_fma_f64 v[60:61], v[24:25], s[12:13], v[66:67]
	buffer_load_dword v24, off, s[20:23], 0 offset:152 ; 4-byte Folded Reload
	s_waitcnt vmcnt(0)
	ds_write_b128 v24, v[0:3]
	ds_write_b128 v24, v[4:7] offset:1728
	ds_write_b128 v24, v[8:11] offset:3456
	buffer_load_dword v0, off, s[20:23], 0 offset:156 ; 4-byte Folded Reload
	v_add_f64 v[76:77], v[68:69], -v[72:73]
	v_add_f64 v[68:69], v[64:65], v[68:69]
	v_add_f64 v[28:29], v[28:29], -v[70:71]
	v_add_f64 v[52:53], v[34:35], v[26:27]
	v_add_f64 v[62:63], v[30:31], v[70:71]
	v_fma_f64 v[66:67], v[76:77], s[12:13], v[74:75]
	v_add_f64 v[64:65], v[68:69], v[72:73]
	v_fma_f64 v[68:69], v[28:29], s[6:7], v[78:79]
	v_fma_f64 v[70:71], v[76:77], s[6:7], v[74:75]
	;; [unrolled: 1-line block ×3, first 2 shown]
	s_waitcnt vmcnt(0)
	ds_write_b128 v0, v[12:15]
	ds_write_b128 v0, v[16:19] offset:1728
	ds_write_b128 v0, v[20:23] offset:3456
	ds_write_b128 v254, v[50:53]
	ds_write_b128 v254, v[54:57] offset:1728
	ds_write_b128 v254, v[58:61] offset:3456
	;; [unrolled: 3-line block ×3, first 2 shown]
	s_waitcnt lgkmcnt(0)
	s_barrier
	ds_read_b128 v[0:3], v241
	ds_read_b128 v[4:7], v241 offset:15552
	ds_read_b128 v[8:11], v241 offset:31104
	;; [unrolled: 1-line block ×8, first 2 shown]
	s_waitcnt lgkmcnt(7)
	v_mul_f64 v[26:27], v[158:159], v[4:5]
	s_waitcnt lgkmcnt(6)
	v_mul_f64 v[30:31], v[154:155], v[8:9]
	v_mul_f64 v[28:29], v[154:155], v[10:11]
	;; [unrolled: 1-line block ×3, first 2 shown]
	s_waitcnt lgkmcnt(4)
	v_mul_f64 v[34:35], v[166:167], v[18:19]
	ds_read_b128 v[66:69], v241 offset:27216
	ds_read_b128 v[62:65], v241 offset:11664
	;; [unrolled: 1-line block ×3, first 2 shown]
	v_fma_f64 v[6:7], v[156:157], v[6:7], -v[26:27]
	s_waitcnt lgkmcnt(6)
	v_mul_f64 v[26:27], v[162:163], v[22:23]
	v_fma_f64 v[10:11], v[152:153], v[10:11], -v[30:31]
	s_waitcnt lgkmcnt(4)
	v_mul_f64 v[30:31], v[174:175], v[56:57]
	v_fma_f64 v[8:9], v[152:153], v[8:9], v[28:29]
	v_mul_f64 v[28:29], v[162:163], v[20:21]
	v_fma_f64 v[4:5], v[156:157], v[4:5], v[24:25]
	v_mul_f64 v[24:25], v[166:167], v[16:17]
	v_fma_f64 v[16:17], v[164:165], v[16:17], v[34:35]
	v_mul_f64 v[34:35], v[174:175], v[54:55]
	v_fma_f64 v[20:21], v[160:161], v[20:21], v[26:27]
	s_waitcnt lgkmcnt(3)
	v_mul_f64 v[26:27], v[170:171], v[58:59]
	v_fma_f64 v[30:31], v[172:173], v[54:55], v[30:31]
	s_waitcnt lgkmcnt(2)
	v_mul_f64 v[54:55], v[178:179], v[66:67]
	v_fma_f64 v[22:23], v[160:161], v[22:23], -v[28:29]
	v_mul_f64 v[28:29], v[178:179], v[68:69]
	v_fma_f64 v[18:19], v[164:165], v[18:19], -v[24:25]
	;; [unrolled: 2-line block ×3, first 2 shown]
	v_add_f64 v[56:57], v[4:5], v[8:9]
	v_fma_f64 v[26:27], v[168:169], v[60:61], -v[26:27]
	s_waitcnt lgkmcnt(0)
	v_mul_f64 v[60:61], v[182:183], v[70:71]
	v_fma_f64 v[68:69], v[176:177], v[68:69], -v[54:55]
	v_add_f64 v[54:55], v[6:7], v[10:11]
	v_fma_f64 v[28:29], v[176:177], v[66:67], v[28:29]
	v_add_f64 v[66:67], v[0:1], v[4:5]
	v_add_f64 v[74:75], v[6:7], -v[10:11]
	v_add_f64 v[6:7], v[2:3], v[6:7]
	v_fma_f64 v[24:25], v[168:169], v[58:59], v[24:25]
	v_mul_f64 v[58:59], v[182:183], v[72:73]
	v_fma_f64 v[56:57], v[56:57], -0.5, v[0:1]
	v_fma_f64 v[72:73], v[180:181], v[72:73], -v[60:61]
	v_fma_f64 v[54:55], v[54:55], -0.5, v[2:3]
	v_add_f64 v[60:61], v[4:5], -v[8:9]
	v_add_f64 v[0:1], v[66:67], v[8:9]
	v_add_f64 v[2:3], v[6:7], v[10:11]
	s_barrier
	v_fma_f64 v[4:5], v[74:75], s[12:13], v[56:57]
	v_fma_f64 v[8:9], v[74:75], s[6:7], v[56:57]
	;; [unrolled: 1-line block ×4, first 2 shown]
	ds_write_b128 v241, v[0:3]
	ds_write_b128 v241, v[4:7] offset:5184
	ds_write_b128 v241, v[8:11] offset:10368
	buffer_load_dword v0, off, s[20:23], 0 offset:160 ; 4-byte Folded Reload
	v_fma_f64 v[70:71], v[180:181], v[70:71], v[58:59]
	v_add_f64 v[58:59], v[16:17], v[20:21]
	v_add_f64 v[56:57], v[18:19], v[22:23]
	;; [unrolled: 1-line block ×3, first 2 shown]
	v_add_f64 v[74:75], v[18:19], -v[22:23]
	v_add_f64 v[76:77], v[30:31], v[24:25]
	v_add_f64 v[18:19], v[14:15], v[18:19]
	;; [unrolled: 1-line block ×3, first 2 shown]
	v_fma_f64 v[58:59], v[58:59], -0.5, v[12:13]
	v_fma_f64 v[54:55], v[56:57], -0.5, v[14:15]
	v_add_f64 v[56:57], v[16:17], -v[20:21]
	v_add_f64 v[12:13], v[66:67], v[20:21]
	v_fma_f64 v[66:67], v[76:77], -0.5, v[50:51]
	v_add_f64 v[76:77], v[34:35], -v[26:27]
	v_add_f64 v[14:15], v[18:19], v[22:23]
	v_add_f64 v[50:51], v[60:61], v[24:25]
	v_fma_f64 v[16:17], v[74:75], s[12:13], v[58:59]
	v_fma_f64 v[20:21], v[74:75], s[6:7], v[58:59]
	v_add_f64 v[74:75], v[34:35], v[26:27]
	v_fma_f64 v[18:19], v[56:57], s[6:7], v[54:55]
	v_fma_f64 v[22:23], v[56:57], s[12:13], v[54:55]
	v_add_f64 v[56:57], v[28:29], v[70:71]
	v_add_f64 v[60:61], v[68:69], v[72:73]
	;; [unrolled: 1-line block ×3, first 2 shown]
	v_fma_f64 v[54:55], v[76:77], s[12:13], v[66:67]
	v_fma_f64 v[58:59], v[76:77], s[6:7], v[66:67]
	v_fma_f64 v[66:67], v[74:75], -0.5, v[52:53]
	v_add_f64 v[24:25], v[30:31], -v[24:25]
	v_add_f64 v[30:31], v[62:63], v[28:29]
	v_add_f64 v[76:77], v[68:69], -v[72:73]
	v_add_f64 v[68:69], v[64:65], v[68:69]
	v_fma_f64 v[74:75], v[56:57], -0.5, v[62:63]
	v_fma_f64 v[78:79], v[60:61], -0.5, v[64:65]
	v_add_f64 v[28:29], v[28:29], -v[70:71]
	v_add_f64 v[52:53], v[34:35], v[26:27]
	v_fma_f64 v[56:57], v[24:25], s[6:7], v[66:67]
	v_fma_f64 v[60:61], v[24:25], s[12:13], v[66:67]
	v_add_f64 v[62:63], v[30:31], v[70:71]
	v_add_f64 v[64:65], v[68:69], v[72:73]
	v_fma_f64 v[66:67], v[76:77], s[12:13], v[74:75]
	v_fma_f64 v[70:71], v[76:77], s[6:7], v[74:75]
	;; [unrolled: 1-line block ×4, first 2 shown]
	s_waitcnt vmcnt(0)
	ds_write_b128 v0, v[12:15]
	ds_write_b128 v0, v[16:19] offset:5184
	ds_write_b128 v0, v[20:23] offset:10368
	ds_write_b128 v33, v[50:53]
	ds_write_b128 v33, v[54:57] offset:5184
	ds_write_b128 v33, v[58:61] offset:10368
	;; [unrolled: 1-line block ×5, first 2 shown]
	s_waitcnt lgkmcnt(0)
	s_barrier
	ds_read_b128 v[0:3], v241
	ds_read_b128 v[4:7], v241 offset:15552
	ds_read_b128 v[8:11], v241 offset:31104
	;; [unrolled: 1-line block ×8, first 2 shown]
	s_waitcnt lgkmcnt(7)
	v_mul_f64 v[24:25], v[190:191], v[6:7]
	v_mul_f64 v[26:27], v[190:191], v[4:5]
	s_waitcnt lgkmcnt(6)
	v_mul_f64 v[28:29], v[186:187], v[10:11]
	v_mul_f64 v[30:31], v[186:187], v[8:9]
	s_waitcnt lgkmcnt(4)
	v_mul_f64 v[33:34], v[198:199], v[18:19]
	ds_read_b128 v[66:69], v241 offset:27216
	ds_read_b128 v[62:65], v241 offset:11664
	;; [unrolled: 1-line block ×3, first 2 shown]
	v_fma_f64 v[4:5], v[188:189], v[4:5], v[24:25]
	v_mul_f64 v[24:25], v[198:199], v[16:17]
	v_fma_f64 v[6:7], v[188:189], v[6:7], -v[26:27]
	v_fma_f64 v[8:9], v[184:185], v[8:9], v[28:29]
	s_waitcnt lgkmcnt(6)
	v_mul_f64 v[26:27], v[194:195], v[22:23]
	v_fma_f64 v[10:11], v[184:185], v[10:11], -v[30:31]
	v_mul_f64 v[28:29], v[194:195], v[20:21]
	v_fma_f64 v[16:17], v[196:197], v[16:17], v[33:34]
	s_waitcnt lgkmcnt(4)
	v_mul_f64 v[30:31], v[202:203], v[56:57]
	v_mul_f64 v[33:34], v[202:203], v[54:55]
	v_fma_f64 v[18:19], v[196:197], v[18:19], -v[24:25]
	s_waitcnt lgkmcnt(3)
	v_mul_f64 v[24:25], v[206:207], v[60:61]
	v_fma_f64 v[20:21], v[192:193], v[20:21], v[26:27]
	v_mul_f64 v[26:27], v[206:207], v[58:59]
	v_fma_f64 v[22:23], v[192:193], v[22:23], -v[28:29]
	s_waitcnt lgkmcnt(2)
	v_mul_f64 v[28:29], v[214:215], v[68:69]
	v_fma_f64 v[30:31], v[200:201], v[54:55], v[30:31]
	v_fma_f64 v[33:34], v[200:201], v[56:57], -v[33:34]
	v_mul_f64 v[54:55], v[214:215], v[66:67]
	v_add_f64 v[56:57], v[4:5], v[8:9]
	v_fma_f64 v[24:25], v[204:205], v[58:59], v[24:25]
	s_waitcnt lgkmcnt(0)
	v_mul_f64 v[58:59], v[210:211], v[72:73]
	v_fma_f64 v[26:27], v[204:205], v[60:61], -v[26:27]
	v_fma_f64 v[28:29], v[212:213], v[66:67], v[28:29]
	v_mul_f64 v[60:61], v[210:211], v[70:71]
	v_add_f64 v[66:67], v[0:1], v[4:5]
	v_fma_f64 v[68:69], v[212:213], v[68:69], -v[54:55]
	v_add_f64 v[54:55], v[6:7], v[10:11]
	v_fma_f64 v[56:57], v[56:57], -0.5, v[0:1]
	v_add_f64 v[74:75], v[6:7], -v[10:11]
	v_fma_f64 v[70:71], v[208:209], v[70:71], v[58:59]
	v_add_f64 v[58:59], v[16:17], v[20:21]
	v_add_f64 v[6:7], v[2:3], v[6:7]
	v_fma_f64 v[72:73], v[208:209], v[72:73], -v[60:61]
	v_add_f64 v[0:1], v[66:67], v[8:9]
	v_fma_f64 v[54:55], v[54:55], -0.5, v[2:3]
	v_add_f64 v[60:61], v[4:5], -v[8:9]
	v_fma_f64 v[4:5], v[74:75], s[12:13], v[56:57]
	v_fma_f64 v[8:9], v[74:75], s[6:7], v[56:57]
	v_add_f64 v[56:57], v[18:19], v[22:23]
	v_add_f64 v[66:67], v[12:13], v[16:17]
	v_fma_f64 v[58:59], v[58:59], -0.5, v[12:13]
	v_add_f64 v[74:75], v[18:19], -v[22:23]
	v_add_f64 v[76:77], v[30:31], v[24:25]
	v_add_f64 v[2:3], v[6:7], v[10:11]
	v_fma_f64 v[6:7], v[60:61], s[6:7], v[54:55]
	v_fma_f64 v[10:11], v[60:61], s[12:13], v[54:55]
	v_add_f64 v[18:19], v[14:15], v[18:19]
	v_fma_f64 v[54:55], v[56:57], -0.5, v[14:15]
	v_add_f64 v[56:57], v[16:17], -v[20:21]
	v_add_f64 v[60:61], v[50:51], v[30:31]
	v_add_f64 v[12:13], v[66:67], v[20:21]
	v_fma_f64 v[16:17], v[74:75], s[12:13], v[58:59]
	v_fma_f64 v[66:67], v[76:77], -0.5, v[50:51]
	v_add_f64 v[76:77], v[33:34], -v[26:27]
	v_fma_f64 v[20:21], v[74:75], s[6:7], v[58:59]
	v_add_f64 v[74:75], v[33:34], v[26:27]
	v_add_f64 v[14:15], v[18:19], v[22:23]
	v_fma_f64 v[18:19], v[56:57], s[6:7], v[54:55]
	v_fma_f64 v[22:23], v[56:57], s[12:13], v[54:55]
	v_add_f64 v[50:51], v[60:61], v[24:25]
	v_add_f64 v[56:57], v[28:29], v[70:71]
	;; [unrolled: 1-line block ×4, first 2 shown]
	v_fma_f64 v[54:55], v[76:77], s[12:13], v[66:67]
	v_fma_f64 v[58:59], v[76:77], s[6:7], v[66:67]
	v_fma_f64 v[66:67], v[74:75], -0.5, v[52:53]
	v_add_f64 v[24:25], v[30:31], -v[24:25]
	v_add_f64 v[30:31], v[62:63], v[28:29]
	v_fma_f64 v[74:75], v[56:57], -0.5, v[62:63]
	v_add_f64 v[76:77], v[68:69], -v[72:73]
	v_add_f64 v[68:69], v[64:65], v[68:69]
	;; [unrolled: 3-line block ×3, first 2 shown]
	v_fma_f64 v[56:57], v[24:25], s[6:7], v[66:67]
	v_fma_f64 v[60:61], v[24:25], s[12:13], v[66:67]
	v_add_f64 v[62:63], v[30:31], v[70:71]
	v_fma_f64 v[66:67], v[76:77], s[12:13], v[74:75]
	v_fma_f64 v[70:71], v[76:77], s[6:7], v[74:75]
	v_add_f64 v[64:65], v[68:69], v[72:73]
	v_fma_f64 v[68:69], v[28:29], s[6:7], v[78:79]
	v_fma_f64 v[72:73], v[28:29], s[12:13], v[78:79]
	ds_write_b128 v241, v[0:3]
	ds_write_b128 v241, v[4:7] offset:15552
	ds_write_b128 v241, v[8:11] offset:31104
	;; [unrolled: 1-line block ×11, first 2 shown]
	s_waitcnt lgkmcnt(0)
	s_barrier
	ds_read_b128 v[0:3], v241
	buffer_load_dword v10, off, s[20:23], 0 offset:112 ; 4-byte Folded Reload
	buffer_load_dword v11, off, s[20:23], 0 offset:116 ; 4-byte Folded Reload
	;; [unrolled: 1-line block ×4, first 2 shown]
	v_mov_b32_e32 v4, v49
	s_waitcnt vmcnt(0) lgkmcnt(0)
	v_mul_f64 v[5:6], v[12:13], v[2:3]
	v_mad_u64_u32 v[7:8], s[0:1], s11, v80, v[4:5]
	v_mul_f64 v[8:9], v[12:13], v[0:1]
	v_fma_f64 v[4:5], v[10:11], v[0:1], v[5:6]
	v_mov_b32_e32 v0, v10
	v_mov_b32_e32 v1, v11
	v_mad_u64_u32 v[10:11], s[0:1], s8, v32, 0
	v_mov_b32_e32 v49, v7
	s_mov_b32 s0, 0xe0bf08c7
	v_fma_f64 v[6:7], v[0:1], v[2:3], -v[8:9]
	v_mov_b32_e32 v0, v11
	v_mad_u64_u32 v[8:9], s[4:5], s9, v32, v[0:1]
	ds_read_b128 v[0:3], v241 offset:7776
	buffer_load_dword v18, off, s[20:23], 0 offset:96 ; 4-byte Folded Reload
	buffer_load_dword v19, off, s[20:23], 0 offset:100 ; 4-byte Folded Reload
	;; [unrolled: 1-line block ×4, first 2 shown]
	v_mov_b32_e32 v11, v8
	v_lshlrev_b64 v[8:9], 4, v[48:49]
	s_mov_b32 s1, 0x3f367980
	v_mul_f64 v[4:5], v[4:5], s[0:1]
	v_mul_f64 v[6:7], v[6:7], s[0:1]
	v_add_co_u32_e32 v16, vcc, s2, v8
	v_mov_b32_e32 v8, s3
	v_addc_co_u32_e32 v17, vcc, v8, v9, vcc
	v_lshlrev_b64 v[8:9], 4, v[10:11]
	s_mul_i32 s2, s9, 0x1e60
	s_mul_hi_u32 s3, s8, 0x1e60
	s_add_i32 s2, s3, s2
	s_mul_i32 s3, s8, 0x1e60
	s_waitcnt vmcnt(0) lgkmcnt(0)
	v_mul_f64 v[12:13], v[20:21], v[2:3]
	v_mul_f64 v[14:15], v[20:21], v[0:1]
	v_fma_f64 v[10:11], v[18:19], v[0:1], v[12:13]
	v_fma_f64 v[12:13], v[18:19], v[2:3], -v[14:15]
	v_add_co_u32_e32 v14, vcc, v16, v8
	v_addc_co_u32_e32 v15, vcc, v17, v9, vcc
	global_store_dwordx4 v[14:15], v[4:7], off
	ds_read_b128 v[0:3], v241 offset:15552
	v_mul_f64 v[4:5], v[10:11], s[0:1]
	v_mul_f64 v[6:7], v[12:13], s[0:1]
	buffer_load_dword v10, off, s[20:23], 0 offset:80 ; 4-byte Folded Reload
	buffer_load_dword v11, off, s[20:23], 0 offset:84 ; 4-byte Folded Reload
	;; [unrolled: 1-line block ×4, first 2 shown]
	v_add_co_u32_e32 v14, vcc, s3, v14
	s_waitcnt vmcnt(0) lgkmcnt(0)
	v_mul_f64 v[8:9], v[12:13], v[2:3]
	v_mov_b32_e32 v17, v11
	v_mul_f64 v[12:13], v[12:13], v[0:1]
	v_mov_b32_e32 v16, v10
	v_fma_f64 v[0:1], v[10:11], v[0:1], v[8:9]
	ds_read_b128 v[8:11], v241 offset:23328
	buffer_load_dword v18, off, s[20:23], 0 offset:64 ; 4-byte Folded Reload
	buffer_load_dword v19, off, s[20:23], 0 offset:68 ; 4-byte Folded Reload
	;; [unrolled: 1-line block ×4, first 2 shown]
	v_fma_f64 v[2:3], v[16:17], v[2:3], -v[12:13]
	v_mov_b32_e32 v12, s2
	v_addc_co_u32_e32 v15, vcc, v15, v12, vcc
	global_store_dwordx4 v[14:15], v[4:7], off
	ds_read_b128 v[4:7], v241 offset:31104
	v_mul_f64 v[0:1], v[0:1], s[0:1]
	v_add_co_u32_e32 v14, vcc, s3, v14
	v_mul_f64 v[2:3], v[2:3], s[0:1]
	s_waitcnt vmcnt(1) lgkmcnt(1)
	v_mul_f64 v[12:13], v[20:21], v[10:11]
	v_mul_f64 v[16:17], v[20:21], v[8:9]
	v_fma_f64 v[8:9], v[18:19], v[8:9], v[12:13]
	v_fma_f64 v[10:11], v[18:19], v[10:11], -v[16:17]
	buffer_load_dword v18, off, s[20:23], 0 offset:48 ; 4-byte Folded Reload
	buffer_load_dword v19, off, s[20:23], 0 offset:52 ; 4-byte Folded Reload
	;; [unrolled: 1-line block ×4, first 2 shown]
	v_mov_b32_e32 v16, s2
	v_addc_co_u32_e32 v15, vcc, v15, v16, vcc
	global_store_dwordx4 v[14:15], v[0:3], off
	v_add_co_u32_e32 v14, vcc, s3, v14
	v_mul_f64 v[0:1], v[8:9], s[0:1]
	v_mul_f64 v[2:3], v[10:11], s[0:1]
	ds_read_b128 v[8:11], v241 offset:38880
	s_waitcnt vmcnt(1) lgkmcnt(1)
	v_mul_f64 v[12:13], v[20:21], v[6:7]
	v_mul_f64 v[16:17], v[20:21], v[4:5]
	v_fma_f64 v[4:5], v[18:19], v[4:5], v[12:13]
	v_fma_f64 v[6:7], v[18:19], v[6:7], -v[16:17]
	v_mov_b32_e32 v12, s2
	v_addc_co_u32_e32 v15, vcc, v15, v12, vcc
	global_store_dwordx4 v[14:15], v[0:3], off
	v_add_co_u32_e32 v14, vcc, s3, v14
	v_mul_f64 v[0:1], v[4:5], s[0:1]
	v_mul_f64 v[2:3], v[6:7], s[0:1]
	ds_read_b128 v[4:7], v241 offset:3888
	buffer_load_dword v18, off, s[20:23], 0 offset:32 ; 4-byte Folded Reload
	buffer_load_dword v19, off, s[20:23], 0 offset:36 ; 4-byte Folded Reload
	;; [unrolled: 1-line block ×4, first 2 shown]
	s_waitcnt lgkmcnt(1)
	v_mul_f64 v[12:13], v[252:253], v[10:11]
	v_mul_f64 v[16:17], v[252:253], v[8:9]
	v_fma_f64 v[8:9], v[250:251], v[8:9], v[12:13]
	v_fma_f64 v[10:11], v[250:251], v[10:11], -v[16:17]
	v_mov_b32_e32 v16, s2
	v_addc_co_u32_e32 v15, vcc, v15, v16, vcc
	global_store_dwordx4 v[14:15], v[0:3], off
	v_add_co_u32_e32 v14, vcc, s3, v14
	v_mul_f64 v[0:1], v[8:9], s[0:1]
	v_mul_f64 v[2:3], v[10:11], s[0:1]
	ds_read_b128 v[8:11], v241 offset:11664
	s_waitcnt vmcnt(1) lgkmcnt(1)
	v_mul_f64 v[12:13], v[20:21], v[6:7]
	v_mul_f64 v[16:17], v[20:21], v[4:5]
	v_fma_f64 v[4:5], v[18:19], v[4:5], v[12:13]
	v_fma_f64 v[6:7], v[18:19], v[6:7], -v[16:17]
	v_mov_b32_e32 v12, s2
	v_addc_co_u32_e32 v15, vcc, v15, v12, vcc
	global_store_dwordx4 v[14:15], v[0:3], off
	v_mov_b32_e32 v18, s2
	v_mul_f64 v[0:1], v[4:5], s[0:1]
	v_mov_b32_e32 v4, 0xffff7750
	v_mul_f64 v[2:3], v[6:7], s[0:1]
	v_mad_u64_u32 v[14:15], s[4:5], s8, v4, v[14:15]
	ds_read_b128 v[4:7], v241 offset:19440
	s_waitcnt lgkmcnt(1)
	v_mul_f64 v[12:13], v[38:39], v[10:11]
	v_mul_f64 v[16:17], v[38:39], v[8:9]
	s_mul_i32 s4, s9, 0xffff7750
	s_sub_i32 s4, s4, s8
	v_add_u32_e32 v15, s4, v15
	global_store_dwordx4 v[14:15], v[0:3], off
	v_add_co_u32_e32 v14, vcc, s3, v14
	v_fma_f64 v[8:9], v[36:37], v[8:9], v[12:13]
	v_fma_f64 v[10:11], v[36:37], v[10:11], -v[16:17]
	s_waitcnt lgkmcnt(0)
	v_mul_f64 v[12:13], v[42:43], v[6:7]
	v_mul_f64 v[16:17], v[42:43], v[4:5]
	;; [unrolled: 1-line block ×4, first 2 shown]
	v_fma_f64 v[4:5], v[40:41], v[4:5], v[12:13]
	v_fma_f64 v[6:7], v[40:41], v[6:7], -v[16:17]
	v_mov_b32_e32 v12, s2
	v_addc_co_u32_e32 v15, vcc, v15, v12, vcc
	ds_read_b128 v[8:11], v241 offset:27216
	global_store_dwordx4 v[14:15], v[0:3], off
	s_nop 0
	v_mul_f64 v[0:1], v[4:5], s[0:1]
	v_mul_f64 v[2:3], v[6:7], s[0:1]
	v_add_co_u32_e32 v14, vcc, s3, v14
	v_addc_co_u32_e32 v15, vcc, v15, v18, vcc
	ds_read_b128 v[4:7], v241 offset:34992
	s_waitcnt lgkmcnt(1)
	v_mul_f64 v[12:13], v[46:47], v[10:11]
	v_mul_f64 v[16:17], v[46:47], v[8:9]
	global_store_dwordx4 v[14:15], v[0:3], off
	ds_read_b128 v[0:3], v241 offset:42768
	buffer_load_dword v18, off, s[20:23], 0 offset:16 ; 4-byte Folded Reload
	buffer_load_dword v19, off, s[20:23], 0 offset:20 ; 4-byte Folded Reload
	;; [unrolled: 1-line block ×4, first 2 shown]
	buffer_load_dword v24, off, s[20:23], 0 ; 4-byte Folded Reload
	buffer_load_dword v25, off, s[20:23], 0 offset:4 ; 4-byte Folded Reload
	buffer_load_dword v26, off, s[20:23], 0 offset:8 ; 4-byte Folded Reload
	buffer_load_dword v27, off, s[20:23], 0 offset:12 ; 4-byte Folded Reload
	v_add_co_u32_e32 v14, vcc, s3, v14
	v_fma_f64 v[8:9], v[44:45], v[8:9], v[12:13]
	v_fma_f64 v[10:11], v[44:45], v[10:11], -v[16:17]
	v_mul_f64 v[8:9], v[8:9], s[0:1]
	v_mul_f64 v[10:11], v[10:11], s[0:1]
	s_waitcnt vmcnt(4) lgkmcnt(1)
	v_mul_f64 v[12:13], v[20:21], v[6:7]
	v_mul_f64 v[16:17], v[20:21], v[4:5]
	v_mov_b32_e32 v23, v19
	v_mov_b32_e32 v22, v18
	s_waitcnt vmcnt(0) lgkmcnt(0)
	v_mul_f64 v[18:19], v[26:27], v[2:3]
	v_mul_f64 v[20:21], v[26:27], v[0:1]
	v_fma_f64 v[4:5], v[22:23], v[4:5], v[12:13]
	v_fma_f64 v[6:7], v[22:23], v[6:7], -v[16:17]
	v_mov_b32_e32 v12, s2
	v_addc_co_u32_e32 v15, vcc, v15, v12, vcc
	v_fma_f64 v[12:13], v[24:25], v[0:1], v[18:19]
	v_fma_f64 v[16:17], v[24:25], v[2:3], -v[20:21]
	global_store_dwordx4 v[14:15], v[8:11], off
	v_mul_f64 v[0:1], v[4:5], s[0:1]
	v_mul_f64 v[2:3], v[6:7], s[0:1]
	v_add_co_u32_e32 v8, vcc, s3, v14
	v_mov_b32_e32 v9, s2
	v_mul_f64 v[4:5], v[12:13], s[0:1]
	v_mul_f64 v[6:7], v[16:17], s[0:1]
	v_addc_co_u32_e32 v9, vcc, v15, v9, vcc
	global_store_dwordx4 v[8:9], v[0:3], off
	s_nop 0
	v_add_co_u32_e32 v0, vcc, s3, v8
	v_mov_b32_e32 v1, s2
	v_addc_co_u32_e32 v1, vcc, v9, v1, vcc
	global_store_dwordx4 v[0:1], v[4:7], off
.LBB0_2:
	s_endpgm
	.section	.rodata,"a",@progbits
	.p2align	6, 0x0
	.amdhsa_kernel bluestein_single_back_len2916_dim1_dp_op_CI_CI
		.amdhsa_group_segment_fixed_size 46656
		.amdhsa_private_segment_fixed_size 168
		.amdhsa_kernarg_size 104
		.amdhsa_user_sgpr_count 6
		.amdhsa_user_sgpr_private_segment_buffer 1
		.amdhsa_user_sgpr_dispatch_ptr 0
		.amdhsa_user_sgpr_queue_ptr 0
		.amdhsa_user_sgpr_kernarg_segment_ptr 1
		.amdhsa_user_sgpr_dispatch_id 0
		.amdhsa_user_sgpr_flat_scratch_init 0
		.amdhsa_user_sgpr_private_segment_size 0
		.amdhsa_uses_dynamic_stack 0
		.amdhsa_system_sgpr_private_segment_wavefront_offset 1
		.amdhsa_system_sgpr_workgroup_id_x 1
		.amdhsa_system_sgpr_workgroup_id_y 0
		.amdhsa_system_sgpr_workgroup_id_z 0
		.amdhsa_system_sgpr_workgroup_info 0
		.amdhsa_system_vgpr_workitem_id 0
		.amdhsa_next_free_vgpr 256
		.amdhsa_next_free_sgpr 24
		.amdhsa_reserve_vcc 1
		.amdhsa_reserve_flat_scratch 0
		.amdhsa_float_round_mode_32 0
		.amdhsa_float_round_mode_16_64 0
		.amdhsa_float_denorm_mode_32 3
		.amdhsa_float_denorm_mode_16_64 3
		.amdhsa_dx10_clamp 1
		.amdhsa_ieee_mode 1
		.amdhsa_fp16_overflow 0
		.amdhsa_exception_fp_ieee_invalid_op 0
		.amdhsa_exception_fp_denorm_src 0
		.amdhsa_exception_fp_ieee_div_zero 0
		.amdhsa_exception_fp_ieee_overflow 0
		.amdhsa_exception_fp_ieee_underflow 0
		.amdhsa_exception_fp_ieee_inexact 0
		.amdhsa_exception_int_div_zero 0
	.end_amdhsa_kernel
	.text
.Lfunc_end0:
	.size	bluestein_single_back_len2916_dim1_dp_op_CI_CI, .Lfunc_end0-bluestein_single_back_len2916_dim1_dp_op_CI_CI
                                        ; -- End function
	.section	.AMDGPU.csdata,"",@progbits
; Kernel info:
; codeLenInByte = 17460
; NumSgprs: 28
; NumVgprs: 256
; ScratchSize: 168
; MemoryBound: 0
; FloatMode: 240
; IeeeMode: 1
; LDSByteSize: 46656 bytes/workgroup (compile time only)
; SGPRBlocks: 3
; VGPRBlocks: 63
; NumSGPRsForWavesPerEU: 28
; NumVGPRsForWavesPerEU: 256
; Occupancy: 1
; WaveLimiterHint : 1
; COMPUTE_PGM_RSRC2:SCRATCH_EN: 1
; COMPUTE_PGM_RSRC2:USER_SGPR: 6
; COMPUTE_PGM_RSRC2:TRAP_HANDLER: 0
; COMPUTE_PGM_RSRC2:TGID_X_EN: 1
; COMPUTE_PGM_RSRC2:TGID_Y_EN: 0
; COMPUTE_PGM_RSRC2:TGID_Z_EN: 0
; COMPUTE_PGM_RSRC2:TIDIG_COMP_CNT: 0
	.type	__hip_cuid_9791212039726800,@object ; @__hip_cuid_9791212039726800
	.section	.bss,"aw",@nobits
	.globl	__hip_cuid_9791212039726800
__hip_cuid_9791212039726800:
	.byte	0                               ; 0x0
	.size	__hip_cuid_9791212039726800, 1

	.ident	"AMD clang version 19.0.0git (https://github.com/RadeonOpenCompute/llvm-project roc-6.4.0 25133 c7fe45cf4b819c5991fe208aaa96edf142730f1d)"
	.section	".note.GNU-stack","",@progbits
	.addrsig
	.addrsig_sym __hip_cuid_9791212039726800
	.amdgpu_metadata
---
amdhsa.kernels:
  - .args:
      - .actual_access:  read_only
        .address_space:  global
        .offset:         0
        .size:           8
        .value_kind:     global_buffer
      - .actual_access:  read_only
        .address_space:  global
        .offset:         8
        .size:           8
        .value_kind:     global_buffer
      - .actual_access:  read_only
        .address_space:  global
        .offset:         16
        .size:           8
        .value_kind:     global_buffer
      - .actual_access:  read_only
        .address_space:  global
        .offset:         24
        .size:           8
        .value_kind:     global_buffer
      - .actual_access:  read_only
        .address_space:  global
        .offset:         32
        .size:           8
        .value_kind:     global_buffer
      - .offset:         40
        .size:           8
        .value_kind:     by_value
      - .address_space:  global
        .offset:         48
        .size:           8
        .value_kind:     global_buffer
      - .address_space:  global
        .offset:         56
        .size:           8
        .value_kind:     global_buffer
      - .address_space:  global
        .offset:         64
        .size:           8
        .value_kind:     global_buffer
      - .address_space:  global
        .offset:         72
        .size:           8
        .value_kind:     global_buffer
      - .offset:         80
        .size:           4
        .value_kind:     by_value
      - .address_space:  global
        .offset:         88
        .size:           8
        .value_kind:     global_buffer
      - .address_space:  global
        .offset:         96
        .size:           8
        .value_kind:     global_buffer
    .group_segment_fixed_size: 46656
    .kernarg_segment_align: 8
    .kernarg_segment_size: 104
    .language:       OpenCL C
    .language_version:
      - 2
      - 0
    .max_flat_workgroup_size: 243
    .name:           bluestein_single_back_len2916_dim1_dp_op_CI_CI
    .private_segment_fixed_size: 168
    .sgpr_count:     28
    .sgpr_spill_count: 0
    .symbol:         bluestein_single_back_len2916_dim1_dp_op_CI_CI.kd
    .uniform_work_group_size: 1
    .uses_dynamic_stack: false
    .vgpr_count:     256
    .vgpr_spill_count: 41
    .wavefront_size: 64
amdhsa.target:   amdgcn-amd-amdhsa--gfx906
amdhsa.version:
  - 1
  - 2
...

	.end_amdgpu_metadata
